;; amdgpu-corpus repo=ROCm/rocFFT kind=compiled arch=gfx950 opt=O3
	.text
	.amdgcn_target "amdgcn-amd-amdhsa--gfx950"
	.amdhsa_code_object_version 6
	.protected	bluestein_single_fwd_len1666_dim1_sp_op_CI_CI ; -- Begin function bluestein_single_fwd_len1666_dim1_sp_op_CI_CI
	.globl	bluestein_single_fwd_len1666_dim1_sp_op_CI_CI
	.p2align	8
	.type	bluestein_single_fwd_len1666_dim1_sp_op_CI_CI,@function
bluestein_single_fwd_len1666_dim1_sp_op_CI_CI: ; @bluestein_single_fwd_len1666_dim1_sp_op_CI_CI
; %bb.0:
	s_load_dwordx4 s[8:11], s[0:1], 0x28
	v_mul_u32_u24_e32 v1, 0x227, v0
	v_mov_b32_e32 v83, 0
	v_add_u32_sdwa v100, s2, v1 dst_sel:DWORD dst_unused:UNUSED_PAD src0_sel:DWORD src1_sel:WORD_1
	v_mov_b32_e32 v101, v83
	s_waitcnt lgkmcnt(0)
	v_cmp_gt_u64_e32 vcc, s[8:9], v[100:101]
	s_and_saveexec_b64 s[2:3], vcc
	s_cbranch_execz .LBB0_15
; %bb.1:
	s_load_dwordx2 s[8:9], s[0:1], 0x0
	s_load_dwordx2 s[12:13], s[0:1], 0x38
	s_movk_i32 s2, 0x77
	v_mul_lo_u16_sdwa v1, v1, s2 dst_sel:DWORD dst_unused:UNUSED_PAD src0_sel:WORD_1 src1_sel:DWORD
	v_sub_u16_e32 v82, v0, v1
	s_movk_i32 s2, 0x62
	v_cmp_gt_u16_e64 s[2:3], s2, v82
	v_lshlrev_b32_e32 v80, 3, v82
	s_and_saveexec_b64 s[14:15], s[2:3]
	s_cbranch_execz .LBB0_3
; %bb.2:
	s_load_dwordx2 s[4:5], s[0:1], 0x18
	v_mov_b32_e32 v0, s10
	v_mov_b32_e32 v1, s11
	;; [unrolled: 1-line block ×4, first 2 shown]
	s_waitcnt lgkmcnt(0)
	s_load_dwordx4 s[4:7], s[4:5], 0x0
	s_waitcnt lgkmcnt(0)
	v_mad_u64_u32 v[2:3], s[10:11], s6, v100, 0
	v_mad_u64_u32 v[4:5], s[10:11], s4, v82, 0
	v_mov_b32_e32 v6, v3
	v_mov_b32_e32 v8, v5
	v_mad_u64_u32 v[6:7], s[6:7], s7, v100, v[6:7]
	v_mov_b32_e32 v3, v6
	v_mad_u64_u32 v[6:7], s[6:7], s5, v82, v[8:9]
	v_mov_b32_e32 v5, v6
	v_lshl_add_u64 v[0:1], v[2:3], 3, v[0:1]
	v_lshl_add_u64 v[4:5], v[4:5], 3, v[0:1]
	global_load_dwordx2 v[0:1], v[4:5], off
	v_mad_u64_u32 v[4:5], s[6:7], s4, v70, v[4:5]
	s_mulk_i32 s5, 0x310
	v_add_u32_e32 v5, s5, v5
	v_mad_u64_u32 v[8:9], s[6:7], s4, v70, v[4:5]
	v_add_u32_e32 v9, s5, v9
	v_mad_u64_u32 v[10:11], s[6:7], s4, v70, v[8:9]
	;; [unrolled: 2-line block ×3, first 2 shown]
	v_add_u32_e32 v13, s5, v13
	global_load_dwordx2 v[2:3], v80, s[8:9]
	global_load_dwordx2 v[14:15], v[4:5], off
	global_load_dwordx2 v[16:17], v[8:9], off
	;; [unrolled: 1-line block ×4, first 2 shown]
	global_load_dwordx2 v[22:23], v80, s[8:9] offset:784
	global_load_dwordx2 v[24:25], v80, s[8:9] offset:1568
	;; [unrolled: 1-line block ×4, first 2 shown]
	v_mad_u64_u32 v[4:5], s[6:7], s4, v70, v[12:13]
	v_add_u32_e32 v5, s5, v5
	global_load_dwordx2 v[8:9], v[4:5], off
	global_load_dwordx2 v[10:11], v80, s[8:9] offset:3920
	v_mad_u64_u32 v[4:5], s[6:7], s4, v70, v[4:5]
	v_lshl_add_u64 v[6:7], s[8:9], 0, v[80:81]
	v_add_u32_e32 v5, s5, v5
	s_movk_i32 s6, 0x1000
	global_load_dwordx2 v[12:13], v[4:5], off
	v_add_co_u32_e32 v30, vcc, s6, v6
	v_mad_u64_u32 v[4:5], s[6:7], s4, v70, v[4:5]
	v_add_u32_e32 v5, s5, v5
	global_load_dwordx2 v[32:33], v[4:5], off
	v_mad_u64_u32 v[4:5], s[6:7], s4, v70, v[4:5]
	v_add_u32_e32 v5, s5, v5
	global_load_dwordx2 v[34:35], v[4:5], off
	v_mad_u64_u32 v[4:5], s[6:7], s4, v70, v[4:5]
	v_addc_co_u32_e32 v31, vcc, 0, v7, vcc
	v_add_u32_e32 v5, s5, v5
	global_load_dwordx2 v[36:37], v[30:31], off offset:608
	global_load_dwordx2 v[38:39], v[4:5], off
	global_load_dwordx2 v[40:41], v[30:31], off offset:1392
	global_load_dwordx2 v[42:43], v[30:31], off offset:2176
	;; [unrolled: 1-line block ×3, first 2 shown]
	v_mad_u64_u32 v[4:5], s[6:7], s4, v70, v[4:5]
	v_add_u32_e32 v5, s5, v5
	global_load_dwordx2 v[46:47], v[4:5], off
	v_mad_u64_u32 v[4:5], s[6:7], s4, v70, v[4:5]
	v_add_u32_e32 v5, s5, v5
	s_movk_i32 s6, 0x2000
	global_load_dwordx2 v[48:49], v[4:5], off
	v_add_co_u32_e32 v50, vcc, s6, v6
	v_mad_u64_u32 v[4:5], s[6:7], s4, v70, v[4:5]
	v_add_u32_e32 v5, s5, v5
	v_addc_co_u32_e32 v51, vcc, 0, v7, vcc
	global_load_dwordx2 v[30:31], v[30:31], off offset:3744
	s_nop 0
	global_load_dwordx2 v[52:53], v[4:5], off
	global_load_dwordx2 v[54:55], v[50:51], off offset:432
	v_mad_u64_u32 v[4:5], s[6:7], s4, v70, v[4:5]
	v_add_u32_e32 v5, s5, v5
	global_load_dwordx2 v[56:57], v[4:5], off
	global_load_dwordx2 v[58:59], v[50:51], off offset:1216
	global_load_dwordx2 v[60:61], v[50:51], off offset:2000
	v_mad_u64_u32 v[4:5], s[6:7], s4, v70, v[4:5]
	v_add_u32_e32 v5, s5, v5
	global_load_dwordx2 v[62:63], v[4:5], off
	v_mad_u64_u32 v[4:5], s[6:7], s4, v70, v[4:5]
	v_add_u32_e32 v5, s5, v5
	global_load_dwordx2 v[64:65], v[4:5], off
	global_load_dwordx2 v[66:67], v[50:51], off offset:2784
	global_load_dwordx2 v[68:69], v[50:51], off offset:3568
	v_mad_u64_u32 v[4:5], s[6:7], s4, v70, v[4:5]
	v_add_co_u32_e32 v6, vcc, 0x3000, v6
	v_add_u32_e32 v5, s5, v5
	s_nop 0
	v_addc_co_u32_e32 v7, vcc, 0, v7, vcc
	global_load_dwordx2 v[4:5], v[4:5], off
	s_waitcnt vmcnt(31)
	v_mul_f32_e32 v50, v0, v3
	global_load_dwordx2 v[6:7], v[6:7], off offset:256
	v_fma_f32 v51, v1, v2, -v50
	v_mul_f32_e32 v50, v1, v3
	v_fmac_f32_e32 v50, v0, v2
	s_waitcnt vmcnt(27)
	v_mul_f32_e32 v0, v15, v23
	v_mul_f32_e32 v1, v14, v23
	v_fmac_f32_e32 v0, v14, v22
	v_fma_f32 v1, v15, v22, -v1
	ds_write2_b64 v80, v[50:51], v[0:1] offset1:98
	s_waitcnt vmcnt(26)
	v_mul_f32_e32 v0, v17, v25
	v_mul_f32_e32 v1, v16, v25
	s_waitcnt vmcnt(25)
	v_mul_f32_e32 v2, v19, v27
	v_mul_f32_e32 v3, v18, v27
	v_fmac_f32_e32 v0, v16, v24
	v_fma_f32 v1, v17, v24, -v1
	v_fmac_f32_e32 v2, v18, v26
	v_fma_f32 v3, v19, v26, -v3
	v_add_u32_e32 v14, 0x400, v80
	ds_write2_b64 v14, v[0:1], v[2:3] offset0:68 offset1:166
	s_waitcnt vmcnt(24)
	v_mul_f32_e32 v0, v21, v29
	v_mul_f32_e32 v1, v20, v29
	s_waitcnt vmcnt(22)
	v_mul_f32_e32 v2, v9, v11
	v_mul_f32_e32 v3, v8, v11
	v_fmac_f32_e32 v0, v20, v28
	v_fma_f32 v1, v21, v28, -v1
	v_fmac_f32_e32 v2, v8, v10
	v_fma_f32 v3, v9, v10, -v3
	v_add_u32_e32 v8, 0x800, v80
	ds_write2_b64 v8, v[0:1], v[2:3] offset0:136 offset1:234
	;; [unrolled: 12-line block ×7, first 2 shown]
	s_waitcnt vmcnt(0)
	v_mul_f32_e32 v0, v5, v7
	v_mul_f32_e32 v1, v4, v7
	v_fmac_f32_e32 v0, v4, v6
	v_fma_f32 v1, v5, v6, -v1
	ds_write_b64 v80, v[0:1] offset:12544
.LBB0_3:
	s_or_b64 exec, exec, s[14:15]
	s_load_dwordx2 s[4:5], s[0:1], 0x20
	s_load_dwordx2 s[10:11], s[0:1], 0x8
	v_mov_b32_e32 v0, 0
	v_mov_b32_e32 v1, 0
	s_waitcnt lgkmcnt(0)
	s_barrier
	s_waitcnt lgkmcnt(0)
                                        ; implicit-def: $vgpr22
                                        ; implicit-def: $vgpr4
                                        ; implicit-def: $vgpr26
                                        ; implicit-def: $vgpr12
                                        ; implicit-def: $vgpr30
                                        ; implicit-def: $vgpr54
                                        ; implicit-def: $vgpr18
                                        ; implicit-def: $vgpr34
	s_and_saveexec_b64 s[0:1], s[2:3]
	s_cbranch_execz .LBB0_5
; %bb.4:
	v_add_u32_e32 v4, 0x400, v80
	ds_read2_b64 v[32:35], v4 offset0:68 offset1:166
	v_add_u32_e32 v4, 0x800, v80
	ds_read2_b64 v[28:31], v4 offset0:136 offset1:234
	;; [unrolled: 2-line block ×3, first 2 shown]
	v_add_u32_e32 v4, 0x1800, v80
	v_add_u32_e32 v8, 0x2000, v80
	ds_read2_b64 v[20:23], v4 offset0:16 offset1:114
	v_add_u32_e32 v4, 0x1c00, v80
	ds_read2_b64 v[12:15], v8 offset0:152 offset1:250
	v_add_u32_e32 v8, 0x2800, v80
	ds_read2_b64 v[0:3], v80 offset1:98
	ds_read2_b64 v[4:7], v4 offset0:84 offset1:182
	ds_read2_b64 v[16:19], v8 offset0:92 offset1:190
	ds_read_b64 v[54:55], v80 offset:12544
.LBB0_5:
	s_or_b64 exec, exec, s[0:1]
	s_mov_b32 s28, 0xbf2c7751
	s_mov_b32 s44, 0xbf65296c
	s_waitcnt lgkmcnt(0)
	v_pk_add_f32 v[40:41], v[54:55], v[2:3]
	v_pk_add_f32 v[8:9], v[2:3], v[54:55] neg_lo:[0,1] neg_hi:[0,1]
	s_mov_b32 s29, 0x3f3d2fb0
	s_mov_b32 s45, 0x3ee437d1
	v_mov_b32_e32 v37, v41
	v_mov_b32_e32 v41, v8
	s_mov_b32 s0, s29
	s_mov_b32 s1, s28
	;; [unrolled: 1-line block ×4, first 2 shown]
	v_pk_mul_f32 v[62:63], v[40:41], s[0:1]
	s_mov_b32 s0, 0xbf7ee86f
	v_pk_mul_f32 v[96:97], v[40:41], s[6:7]
	s_mov_b32 s6, 0xbf4c4adb
	v_pk_add_f32 v[74:75], v[18:19], v[32:33]
	v_pk_add_f32 v[64:65], v[32:33], v[18:19] neg_lo:[0,1] neg_hi:[0,1]
	s_mov_b32 s1, 0x3dbcf732
	s_mov_b32 s7, 0xbf1a4643
	v_mov_b32_e32 v36, v9
	v_mov_b32_e32 v46, v74
	;; [unrolled: 1-line block ×3, first 2 shown]
	s_mov_b32 s46, s1
	s_mov_b32 s47, s0
	;; [unrolled: 1-line block ×4, first 2 shown]
	v_pk_fma_f32 v[60:61], v[36:37], s[28:29], v[62:63]
	v_pk_fma_f32 v[8:9], v[36:37], s[28:29], v[62:63] neg_lo:[0,0,1] neg_hi:[0,0,1]
	v_mov_b32_e32 v38, v65
	v_mov_b32_e32 v39, v75
	v_pk_mul_f32 v[70:71], v[46:47], s[46:47]
	v_pk_mul_f32 v[98:99], v[46:47], s[48:49]
	v_pk_fma_f32 v[110:111], v[36:37], s[44:45], v[96:97]
	v_pk_fma_f32 v[50:51], v[36:37], s[44:45], v[96:97] neg_lo:[0,0,1] neg_hi:[0,0,1]
	v_pk_fma_f32 v[66:67], v[38:39], s[0:1], v[70:71]
	v_pk_fma_f32 v[10:11], v[38:39], s[0:1], v[70:71] neg_lo:[0,0,1] neg_hi:[0,0,1]
	;; [unrolled: 2-line block ×3, first 2 shown]
	v_mov_b32_e32 v8, v60
	v_mov_b32_e32 v50, v110
	v_pk_add_f32 v[44:45], v[34:35], v[16:17] neg_lo:[0,1] neg_hi:[0,1]
	v_pk_add_f32 v[8:9], v[8:9], v[0:1]
	v_pk_add_f32 v[50:51], v[50:51], v[0:1]
	v_mov_b32_e32 v10, v66
	v_mov_b32_e32 v48, v90
	v_pk_add_f32 v[42:43], v[16:17], v[34:35]
	v_pk_add_f32 v[8:9], v[10:11], v[8:9]
	;; [unrolled: 1-line block ×3, first 2 shown]
	s_mov_b32 s20, s7
	v_pk_mul_f32 v[48:49], v[44:45], s[6:7] op_sel_hi:[1,0]
	s_mov_b32 s14, 0x3e3c28d5
	v_pk_fma_f32 v[86:87], v[42:43], s[20:21], v[48:49] op_sel:[0,0,1] op_sel_hi:[1,0,0]
	v_pk_fma_f32 v[88:89], v[42:43], s[20:21], v[48:49] op_sel:[0,0,1] op_sel_hi:[1,0,0] neg_lo:[0,0,1] neg_hi:[0,0,1]
	v_mov_b32_e32 v48, v86
	v_mov_b32_e32 v49, v89
	v_pk_add_f32 v[8:9], v[48:49], v[8:9]
	s_mov_b32 s24, 0xbf7ba420
	v_pk_mul_f32 v[48:49], v[44:45], s[14:15] op_sel_hi:[1,0]
	s_mov_b32 s14, 0xbe3c28d5
	v_pk_fma_f32 v[122:123], v[42:43], s[24:25], v[48:49] op_sel:[0,0,1] op_sel_hi:[1,0,0]
	v_pk_fma_f32 v[78:79], v[42:43], s[24:25], v[48:49] op_sel:[0,0,1] op_sel_hi:[1,0,0] neg_lo:[0,0,1] neg_hi:[0,0,1]
	v_mov_b32_e32 v48, v122
	v_mov_b32_e32 v49, v79
	v_pk_add_f32 v[68:69], v[28:29], v[14:15] neg_lo:[0,1] neg_hi:[0,1]
	v_pk_add_f32 v[10:11], v[48:49], v[10:11]
	v_pk_add_f32 v[48:49], v[14:15], v[28:29]
	v_pk_mul_f32 v[50:51], v[68:69], s[14:15] op_sel:[1,0] op_sel_hi:[0,0]
	v_pk_fma_f32 v[102:103], v[48:49], s[24:25], v[50:51] op_sel_hi:[1,0,1]
	v_pk_fma_f32 v[104:105], v[48:49], s[24:25], v[50:51] op_sel_hi:[1,0,1] neg_lo:[0,0,1] neg_hi:[0,0,1]
	v_mov_b32_e32 v50, v102
	v_mov_b32_e32 v51, v105
	s_mov_b32 s18, 0x3f763a35
	v_pk_add_f32 v[8:9], v[50:51], v[8:9]
	s_mov_b32 s22, 0xbe8c1d8e
	v_pk_mul_f32 v[50:51], v[68:69], s[18:19] op_sel:[1,0] op_sel_hi:[0,0]
	v_pk_fma_f32 v[92:93], v[48:49], s[22:23], v[50:51] op_sel_hi:[1,0,1]
	v_pk_fma_f32 v[94:95], v[48:49], s[22:23], v[50:51] op_sel_hi:[1,0,1] neg_lo:[0,0,1] neg_hi:[0,0,1]
	v_mov_b32_e32 v50, v92
	v_mov_b32_e32 v51, v95
	s_mov_b32 s16, 0x3f06c442
	v_pk_add_f32 v[72:73], v[30:31], v[12:13] neg_lo:[0,1] neg_hi:[0,1]
	v_pk_add_f32 v[10:11], v[50:51], v[10:11]
	s_mov_b32 s34, 0xbf59a7d5
	v_pk_add_f32 v[50:51], v[12:13], v[30:31]
	v_pk_mul_f32 v[52:53], v[72:73], s[16:17] op_sel:[1,0] op_sel_hi:[0,0]
	v_pk_fma_f32 v[112:113], v[50:51], s[34:35], v[52:53] op_sel_hi:[1,0,1]
	v_pk_fma_f32 v[114:115], v[50:51], s[34:35], v[52:53] op_sel_hi:[1,0,1] neg_lo:[0,0,1] neg_hi:[0,0,1]
	v_mov_b32_e32 v52, v112
	v_mov_b32_e32 v53, v115
	s_mov_b32 s38, 0x3f2c7751
	v_pk_add_f32 v[8:9], v[52:53], v[8:9]
	s_mov_b32 s30, s29
	v_pk_mul_f32 v[52:53], v[72:73], s[38:39] op_sel:[1,0] op_sel_hi:[0,0]
	v_pk_fma_f32 v[106:107], v[50:51], s[30:31], v[52:53] op_sel_hi:[1,0,1]
	v_pk_fma_f32 v[108:109], v[50:51], s[30:31], v[52:53] op_sel_hi:[1,0,1] neg_lo:[0,0,1] neg_hi:[0,0,1]
	v_mov_b32_e32 v52, v106
	v_mov_b32_e32 v53, v109
	v_pk_add_f32 v[140:141], v[24:25], v[6:7] neg_lo:[0,1] neg_hi:[0,1]
	v_pk_add_f32 v[10:11], v[52:53], v[10:11]
	v_pk_add_f32 v[52:53], v[6:7], v[24:25]
	v_pk_mul_f32 v[56:57], v[140:141], s[18:19] op_sel:[1,0] op_sel_hi:[0,0]
	v_pk_fma_f32 v[118:119], v[52:53], s[22:23], v[56:57] op_sel_hi:[1,0,1]
	v_pk_fma_f32 v[120:121], v[52:53], s[22:23], v[56:57] op_sel_hi:[1,0,1] neg_lo:[0,0,1] neg_hi:[0,0,1]
	s_mov_b32 s42, 0xbeb8f4ab
	v_mov_b32_e32 v56, v118
	v_mov_b32_e32 v57, v121
	s_mov_b32 s43, 0x3f6eb680
	v_pk_add_f32 v[8:9], v[56:57], v[8:9]
	s_mov_b32 s50, s43
	v_pk_mul_f32 v[56:57], v[140:141], s[42:43] op_sel:[1,0] op_sel_hi:[0,0]
	v_pk_fma_f32 v[116:117], v[52:53], s[50:51], v[56:57] op_sel_hi:[1,0,1]
	v_pk_fma_f32 v[84:85], v[52:53], s[50:51], v[56:57] op_sel_hi:[1,0,1] neg_lo:[0,0,1] neg_hi:[0,0,1]
	v_mov_b32_e32 v56, v116
	v_mov_b32_e32 v57, v85
	s_mov_b32 s26, 0x3f65296c
	v_pk_add_f32 v[154:155], v[26:27], v[4:5] neg_lo:[0,1] neg_hi:[0,1]
	v_pk_add_f32 v[10:11], v[56:57], v[10:11]
	s_mov_b32 s52, s45
	v_pk_add_f32 v[56:57], v[4:5], v[26:27]
	v_pk_mul_f32 v[58:59], v[154:155], s[26:27] op_sel:[1,0] op_sel_hi:[0,0]
	v_pk_fma_f32 v[128:129], v[56:57], s[52:53], v[58:59] op_sel_hi:[1,0,1]
	v_pk_fma_f32 v[130:131], v[56:57], s[52:53], v[58:59] op_sel_hi:[1,0,1] neg_lo:[0,0,1] neg_hi:[0,0,1]
	v_mov_b32_e32 v58, v128
	v_mov_b32_e32 v59, v131
	v_pk_add_f32 v[8:9], v[58:59], v[8:9]
	s_mov_b32 s54, s1
	v_pk_mul_f32 v[58:59], v[154:155], s[0:1] op_sel:[1,0] op_sel_hi:[0,0]
	v_pk_fma_f32 v[124:125], v[56:57], s[54:55], v[58:59] op_sel_hi:[1,0,1]
	v_pk_fma_f32 v[126:127], v[56:57], s[54:55], v[58:59] op_sel_hi:[1,0,1] neg_lo:[0,0,1] neg_hi:[0,0,1]
	v_mov_b32_e32 v58, v124
	v_mov_b32_e32 v59, v127
	s_mov_b32 s40, 0x3eb8f4ab
	v_pk_add_f32 v[178:179], v[20:21], v[22:23] neg_lo:[0,1] neg_hi:[0,1]
	v_pk_add_f32 v[76:77], v[58:59], v[10:11]
	v_pk_add_f32 v[58:59], v[22:23], v[20:21]
	v_pk_mul_f32 v[10:11], v[178:179], s[40:41] op_sel:[1,0] op_sel_hi:[0,0]
	v_pk_fma_f32 v[136:137], v[58:59], s[50:51], v[10:11] op_sel_hi:[1,0,1]
	v_pk_fma_f32 v[138:139], v[58:59], s[50:51], v[10:11] op_sel_hi:[1,0,1] neg_lo:[0,0,1] neg_hi:[0,0,1]
	s_mov_b32 s36, 0xbf06c442
	v_mov_b32_e32 v10, v136
	v_mov_b32_e32 v11, v139
	v_pk_add_f32 v[10:11], v[10:11], v[8:9]
	v_pk_mul_f32 v[8:9], v[178:179], s[36:37] op_sel:[1,0] op_sel_hi:[0,0]
	v_pk_fma_f32 v[132:133], v[58:59], s[34:35], v[8:9] op_sel_hi:[1,0,1]
	v_pk_fma_f32 v[134:135], v[58:59], s[34:35], v[8:9] op_sel_hi:[1,0,1] neg_lo:[0,0,1] neg_hi:[0,0,1]
	v_mov_b32_e32 v8, v132
	v_mov_b32_e32 v9, v135
	v_pk_add_f32 v[8:9], v[8:9], v[76:77]
	v_pk_mul_f32 v[76:77], v[64:65], s[28:29] op_sel:[1,0] op_sel_hi:[0,0]
	v_pk_fma_f32 v[142:143], v[74:75], s[30:31], v[76:77] op_sel_hi:[1,0,1]
	v_pk_fma_f32 v[144:145], v[74:75], s[30:31], v[76:77] op_sel_hi:[1,0,1] neg_lo:[0,0,1] neg_hi:[0,0,1]
	s_mov_b32 s30, s43
	s_mov_b32 s31, s42
	v_pk_mul_f32 v[164:165], v[40:41], s[30:31]
	v_mov_b32_e32 v76, v142
	v_pk_fma_f32 v[162:163], v[36:37], s[42:43], v[164:165]
	v_pk_fma_f32 v[74:75], v[36:37], s[42:43], v[164:165] neg_lo:[0,0,1] neg_hi:[0,0,1]
	v_mov_b32_e32 v77, v145
	v_mov_b32_e32 v74, v162
	v_pk_add_f32 v[74:75], v[74:75], v[0:1]
	s_mov_b32 s30, 0xbf763a35
	v_pk_add_f32 v[74:75], v[76:77], v[74:75]
	v_pk_mul_f32 v[76:77], v[44:45], s[44:45] op_sel_hi:[1,0]
	v_mul_lo_u16_e32 v118, 17, v82
	v_pk_fma_f32 v[146:147], v[42:43], s[52:53], v[76:77] op_sel:[0,0,1] op_sel_hi:[1,0,0]
	v_pk_fma_f32 v[150:151], v[42:43], s[52:53], v[76:77] op_sel:[0,0,1] op_sel_hi:[1,0,0] neg_lo:[0,0,1] neg_hi:[0,0,1]
	v_mov_b32_e32 v76, v146
	v_mov_b32_e32 v77, v151
	v_pk_add_f32 v[74:75], v[76:77], v[74:75]
	v_pk_mul_f32 v[76:77], v[68:69], s[0:1] op_sel:[1,0] op_sel_hi:[0,0]
	v_pk_fma_f32 v[152:153], v[48:49], s[54:55], v[76:77] op_sel_hi:[1,0,1]
	v_pk_fma_f32 v[156:157], v[48:49], s[54:55], v[76:77] op_sel_hi:[1,0,1] neg_lo:[0,0,1] neg_hi:[0,0,1]
	v_mov_b32_e32 v76, v152
	v_mov_b32_e32 v77, v157
	v_pk_add_f32 v[74:75], v[76:77], v[74:75]
	v_pk_mul_f32 v[76:77], v[72:73], s[30:31] op_sel:[1,0] op_sel_hi:[0,0]
	v_pk_fma_f32 v[158:159], v[50:51], s[22:23], v[76:77] op_sel_hi:[1,0,1]
	v_pk_fma_f32 v[160:161], v[50:51], s[22:23], v[76:77] op_sel_hi:[1,0,1] neg_lo:[0,0,1] neg_hi:[0,0,1]
	;; [unrolled: 6-line block ×5, first 2 shown]
	v_mov_b32_e32 v76, v174
	v_mov_b32_e32 v77, v177
	v_pk_add_f32 v[148:149], v[76:77], v[74:75]
	s_barrier
	s_and_saveexec_b64 s[20:21], s[2:3]
	s_cbranch_execz .LBB0_7
; %bb.6:
	v_pk_add_f32 v[2:3], v[2:3], v[0:1]
	v_pk_mul_f32 v[180:181], v[36:37], s[42:43]
	v_pk_add_f32 v[2:3], v[32:33], v[2:3]
	v_mov_b32_e32 v90, v65
	v_pk_add_f32 v[2:3], v[34:35], v[2:3]
	v_pk_add_f32 v[64:65], v[164:165], v[180:181] neg_lo:[0,1] neg_hi:[0,1]
	v_pk_add_f32 v[2:3], v[28:29], v[2:3]
	v_mov_b32_e32 v65, v163
	v_pk_add_f32 v[2:3], v[30:31], v[2:3]
	v_mov_b32_e32 v145, v143
	;; [unrolled: 2-line block ×6, first 2 shown]
	v_pk_add_f32 v[4:5], v[4:5], v[182:183]
	v_pk_mul_f32 v[2:3], v[36:37], s[28:29]
	v_pk_add_f32 v[4:5], v[6:7], v[4:5]
	v_pk_add_f32 v[6:7], v[64:65], v[0:1]
	;; [unrolled: 1-line block ×6, first 2 shown]
	v_pk_mul_f32 v[20:21], v[36:37], s[44:45]
	v_pk_add_f32 v[6:7], v[156:157], v[6:7]
	v_pk_add_f32 v[4:5], v[16:17], v[4:5]
	;; [unrolled: 1-line block ×3, first 2 shown]
	v_mov_b32_e32 v173, v171
	v_pk_add_f32 v[6:7], v[168:169], v[6:7]
	v_pk_add_f32 v[96:97], v[96:97], v[20:21] neg_lo:[0,1] neg_hi:[0,1]
	v_pk_mul_f32 v[20:21], v[38:39], s[0:1]
	v_pk_mul_f32 v[22:23], v[38:39], s[6:7]
	v_pk_add_f32 v[62:63], v[62:63], v[2:3] neg_lo:[0,1] neg_hi:[0,1]
	v_pk_add_f32 v[4:5], v[18:19], v[4:5]
	v_pk_add_f32 v[6:7], v[172:173], v[6:7]
	v_mov_b32_e32 v177, v175
	v_mov_b32_e32 v97, v111
	v_pk_add_f32 v[98:99], v[98:99], v[22:23] neg_lo:[0,1] neg_hi:[0,1]
	v_mov_b32_e32 v63, v61
	v_pk_add_f32 v[60:61], v[70:71], v[20:21] neg_lo:[0,1] neg_hi:[0,1]
	v_lshlrev_b32_e32 v81, 3, v118
	v_pk_add_f32 v[4:5], v[54:55], v[4:5]
	v_pk_add_f32 v[6:7], v[176:177], v[6:7]
	v_mov_b32_e32 v99, v91
	v_mov_b32_e32 v61, v67
	ds_write2_b64 v81, v[4:5], v[6:7] offset1:1
	v_pk_add_f32 v[4:5], v[62:63], v[0:1]
	v_pk_add_f32 v[6:7], v[96:97], v[0:1]
	v_mov_b32_e32 v79, v123
	v_pk_add_f32 v[4:5], v[60:61], v[4:5]
	v_mov_b32_e32 v89, v87
	v_pk_add_f32 v[6:7], v[98:99], v[6:7]
	v_pk_add_f32 v[4:5], v[88:89], v[4:5]
	v_mov_b32_e32 v105, v103
	v_pk_add_f32 v[6:7], v[78:79], v[6:7]
	v_mov_b32_e32 v95, v93
	;; [unrolled: 2-line block ×10, first 2 shown]
	v_pk_mul_f32 v[20:21], v[40:41], s[46:47]
	v_pk_add_f32 v[4:5], v[138:139], v[4:5]
	v_pk_add_f32 v[6:7], v[134:135], v[6:7]
	s_mov_b32 s25, s14
	ds_write2_b64 v81, v[4:5], v[6:7] offset0:2 offset1:3
	v_pk_fma_f32 v[6:7], v[36:37], s[0:1], v[20:21] neg_lo:[1,0,0] neg_hi:[1,0,0]
	v_pk_fma_f32 v[4:5], v[36:37], s[0:1], v[20:21]
	s_mov_b32 s15, s24
	v_pk_mul_f32 v[2:3], v[46:47], s[24:25]
	v_mov_b32_e32 v7, v5
	v_pk_add_f32 v[12:13], v[6:7], v[0:1]
	v_pk_fma_f32 v[14:15], v[90:91], s[14:15], v[2:3] neg_lo:[1,0,0] neg_hi:[1,0,0]
	v_pk_fma_f32 v[6:7], v[38:39], s[14:15], v[2:3]
	s_mov_b32 s23, s30
	s_mov_b32 s19, s22
	v_mov_b32_e32 v15, v7
	v_pk_mul_f32 v[22:23], v[40:41], s[22:23]
	s_mov_b32 s23, s18
	v_pk_add_f32 v[16:17], v[14:15], v[12:13]
	v_pk_mul_f32 v[14:15], v[44:45], s[18:19] op_sel_hi:[1,0]
	v_mov_b32_e32 v76, v69
	v_pk_fma_f32 v[12:13], v[42:43], s[22:23], v[14:15] op_sel:[0,0,1] op_sel_hi:[1,0,0] neg_lo:[0,0,1] neg_hi:[0,0,1]
	v_pk_fma_f32 v[14:15], v[42:43], s[22:23], v[14:15] op_sel:[0,0,1] op_sel_hi:[1,0,0]
	v_mov_b32_e32 v77, v68
	s_mov_b32 s41, s43
	v_mov_b32_e32 v18, v12
	v_mov_b32_e32 v19, v15
	v_pk_add_f32 v[54:55], v[18:19], v[16:17]
	s_mov_b32 s54, s43
	v_pk_mul_f32 v[18:19], v[76:77], s[40:41] op_sel_hi:[1,0]
	v_mov_b32_e32 v74, v73
	v_pk_fma_f32 v[16:17], v[48:49], s[54:55], v[18:19] op_sel_hi:[1,0,1] neg_lo:[0,0,1] neg_hi:[0,0,1]
	v_pk_fma_f32 v[18:19], v[48:49], s[54:55], v[18:19] op_sel_hi:[1,0,1]
	v_mov_b32_e32 v75, v72
	v_mov_b32_e32 v60, v16
	;; [unrolled: 1-line block ×3, first 2 shown]
	v_pk_add_f32 v[62:63], v[60:61], v[54:55]
	s_mov_b32 s46, s45
	v_pk_mul_f32 v[60:61], v[74:75], s[44:45] op_sel_hi:[1,0]
	v_mov_b32_e32 v72, v141
	v_pk_fma_f32 v[54:55], v[50:51], s[46:47], v[60:61] op_sel_hi:[1,0,1] neg_lo:[0,0,1] neg_hi:[0,0,1]
	v_pk_fma_f32 v[60:61], v[50:51], s[46:47], v[60:61] op_sel_hi:[1,0,1]
	v_mov_b32_e32 v73, v140
	s_mov_b32 s35, s16
	s_mov_b32 s37, s34
	v_mov_b32_e32 v64, v54
	v_mov_b32_e32 v65, v61
	v_pk_mul_f32 v[24:25], v[46:47], s[34:35]
	s_mov_b32 s35, s36
	v_pk_add_f32 v[66:67], v[64:65], v[62:63]
	v_pk_mul_f32 v[64:65], v[72:73], s[36:37] op_sel_hi:[1,0]
	v_mov_b32_e32 v68, v155
	v_pk_fma_f32 v[62:63], v[52:53], s[34:35], v[64:65] op_sel_hi:[1,0,1] neg_lo:[0,0,1] neg_hi:[0,0,1]
	v_pk_fma_f32 v[64:65], v[52:53], s[34:35], v[64:65] op_sel_hi:[1,0,1]
	v_mov_b32_e32 v69, v154
	v_pk_mul_f32 v[26:27], v[40:41], s[48:49]
	s_mov_b32 s48, s45
	s_mov_b32 s49, s26
	v_mov_b32_e32 v70, v62
	v_mov_b32_e32 v71, v65
	s_mov_b32 s56, 0x3f4c4adb
	v_pk_mul_f32 v[32:33], v[46:47], s[48:49]
	v_pk_add_f32 v[78:79], v[70:71], v[66:67]
	s_mov_b32 s48, s7
	v_pk_mul_f32 v[70:71], v[68:69], s[56:57] op_sel_hi:[1,0]
	v_mov_b32_e32 v34, v179
	v_mov_b32_e32 v35, v178
	v_pk_fma_f32 v[66:67], v[56:57], s[48:49], v[70:71] op_sel_hi:[1,0,1] neg_lo:[0,0,1] neg_hi:[0,0,1]
	v_pk_fma_f32 v[70:71], v[56:57], s[48:49], v[70:71] op_sel_hi:[1,0,1]
	v_mov_b32_e32 v84, v66
	v_mov_b32_e32 v85, v71
	s_mov_b32 s52, s29
	v_pk_mul_f32 v[86:87], v[34:35], s[38:39] op_sel_hi:[1,0]
	v_pk_add_f32 v[84:85], v[84:85], v[78:79]
	v_pk_fma_f32 v[78:79], v[58:59], s[52:53], v[86:87] op_sel_hi:[1,0,1] neg_lo:[0,0,1] neg_hi:[0,0,1]
	v_pk_fma_f32 v[86:87], v[58:59], s[52:53], v[86:87] op_sel_hi:[1,0,1]
	s_mov_b32 s31, s22
	v_mov_b32_e32 v88, v78
	v_mov_b32_e32 v89, v87
	v_pk_add_f32 v[120:121], v[88:89], v[84:85]
	v_pk_fma_f32 v[88:89], v[36:37], s[30:31], v[22:23] neg_lo:[1,0,0] neg_hi:[1,0,0]
	v_pk_fma_f32 v[84:85], v[36:37], s[30:31], v[22:23]
	s_mov_b32 s17, s34
	v_mov_b32_e32 v89, v85
	v_pk_add_f32 v[92:93], v[88:89], v[0:1]
	v_pk_fma_f32 v[96:97], v[90:91], s[16:17], v[24:25] neg_lo:[1,0,0] neg_hi:[1,0,0]
	v_pk_fma_f32 v[88:89], v[38:39], s[16:17], v[24:25]
	v_pk_mul_f32 v[94:95], v[44:45], s[38:39] op_sel_hi:[1,0]
	v_mov_b32_e32 v97, v89
	v_pk_add_f32 v[96:97], v[96:97], v[92:93]
	v_pk_fma_f32 v[92:93], v[42:43], s[52:53], v[94:95] op_sel:[0,0,1] op_sel_hi:[1,0,0] neg_lo:[0,0,1] neg_hi:[0,0,1]
	v_pk_fma_f32 v[94:95], v[42:43], s[52:53], v[94:95] op_sel:[0,0,1] op_sel_hi:[1,0,0]
	v_pk_mul_f32 v[98:99], v[76:77], s[44:45] op_sel_hi:[1,0]
	v_mov_b32_e32 v102, v92
	v_mov_b32_e32 v103, v95
	v_pk_add_f32 v[102:103], v[102:103], v[96:97]
	v_pk_fma_f32 v[96:97], v[48:49], s[46:47], v[98:99] op_sel_hi:[1,0,1] neg_lo:[0,0,1] neg_hi:[0,0,1]
	v_pk_fma_f32 v[98:99], v[48:49], s[46:47], v[98:99] op_sel_hi:[1,0,1]
	v_pk_mul_f32 v[104:105], v[74:75], s[14:15] op_sel_hi:[1,0]
	v_mov_b32_e32 v106, v96
	v_mov_b32_e32 v107, v99
	s_mov_b32 s50, 0x3f7ee86f
	v_pk_add_f32 v[106:107], v[106:107], v[102:103]
	v_pk_fma_f32 v[102:103], v[50:51], s[24:25], v[104:105] op_sel_hi:[1,0,1] neg_lo:[0,0,1] neg_hi:[0,0,1]
	v_pk_fma_f32 v[104:105], v[50:51], s[24:25], v[104:105] op_sel_hi:[1,0,1]
	s_mov_b32 s44, s1
	v_pk_mul_f32 v[108:109], v[72:73], s[50:51] op_sel_hi:[1,0]
	v_mov_b32_e32 v110, v102
	v_mov_b32_e32 v111, v105
	v_pk_add_f32 v[110:111], v[110:111], v[106:107]
	v_pk_fma_f32 v[106:107], v[52:53], s[44:45], v[108:109] op_sel_hi:[1,0,1] neg_lo:[0,0,1] neg_hi:[0,0,1]
	v_pk_fma_f32 v[108:109], v[52:53], s[44:45], v[108:109] op_sel_hi:[1,0,1]
	v_pk_mul_f32 v[112:113], v[68:69], s[42:43] op_sel_hi:[1,0]
	v_mov_b32_e32 v114, v106
	v_mov_b32_e32 v115, v109
	v_pk_add_f32 v[114:115], v[114:115], v[110:111]
	v_pk_fma_f32 v[110:111], v[56:57], s[54:55], v[112:113] op_sel_hi:[1,0,1] neg_lo:[0,0,1] neg_hi:[0,0,1]
	v_pk_fma_f32 v[112:113], v[56:57], s[54:55], v[112:113] op_sel_hi:[1,0,1]
	v_pk_mul_f32 v[116:117], v[34:35], s[6:7] op_sel_hi:[1,0]
	v_mov_b32_e32 v122, v110
	v_mov_b32_e32 v123, v113
	v_pk_add_f32 v[122:123], v[122:123], v[114:115]
	v_pk_fma_f32 v[114:115], v[58:59], s[48:49], v[116:117] op_sel_hi:[1,0,1] neg_lo:[0,0,1] neg_hi:[0,0,1]
	v_pk_fma_f32 v[116:117], v[58:59], s[48:49], v[116:117] op_sel_hi:[1,0,1]
	v_pk_mul_f32 v[28:29], v[46:47], s[22:23]
	v_mov_b32_e32 v124, v114
	v_mov_b32_e32 v125, v117
	v_pk_fma_f32 v[132:133], v[36:37], s[6:7], v[26:27] neg_lo:[1,0,0] neg_hi:[1,0,0]
	v_pk_fma_f32 v[134:135], v[36:37], s[6:7], v[26:27]
	v_pk_add_f32 v[122:123], v[124:125], v[122:123]
	v_mov_b32_e32 v133, v135
	v_pk_fma_f32 v[136:137], v[90:91], s[18:19], v[28:29] neg_lo:[1,0,0] neg_hi:[1,0,0]
	v_pk_fma_f32 v[138:139], v[38:39], s[18:19], v[28:29]
	ds_write2_b64 v81, v[120:121], v[122:123] offset0:4 offset1:5
	v_pk_mul_f32 v[120:121], v[44:45], s[42:43] op_sel_hi:[1,0]
	v_pk_add_f32 v[132:133], v[132:133], v[0:1]
	v_mov_b32_e32 v137, v139
	v_pk_add_f32 v[132:133], v[136:137], v[132:133]
	v_pk_fma_f32 v[136:137], v[42:43], s[54:55], v[120:121] op_sel:[0,0,1] op_sel_hi:[1,0,0] neg_lo:[0,0,1] neg_hi:[0,0,1]
	v_pk_fma_f32 v[120:121], v[42:43], s[54:55], v[120:121] op_sel:[0,0,1] op_sel_hi:[1,0,0]
	v_pk_mul_f32 v[122:123], v[76:77], s[36:37] op_sel_hi:[1,0]
	v_mov_b32_e32 v140, v136
	v_mov_b32_e32 v141, v121
	v_pk_add_f32 v[132:133], v[140:141], v[132:133]
	v_pk_fma_f32 v[140:141], v[48:49], s[34:35], v[122:123] op_sel_hi:[1,0,1] neg_lo:[0,0,1] neg_hi:[0,0,1]
	v_pk_fma_f32 v[122:123], v[48:49], s[34:35], v[122:123] op_sel_hi:[1,0,1]
	v_pk_mul_f32 v[124:125], v[74:75], s[50:51] op_sel_hi:[1,0]
	v_mov_b32_e32 v142, v140
	v_mov_b32_e32 v143, v123
	v_pk_add_f32 v[132:133], v[142:143], v[132:133]
	v_pk_fma_f32 v[142:143], v[50:51], s[44:45], v[124:125] op_sel_hi:[1,0,1] neg_lo:[0,0,1] neg_hi:[0,0,1]
	v_pk_fma_f32 v[124:125], v[50:51], s[44:45], v[124:125] op_sel_hi:[1,0,1]
	;; [unrolled: 6-line block ×3, first 2 shown]
	v_pk_mul_f32 v[128:129], v[68:69], s[14:15] op_sel_hi:[1,0]
	v_mov_b32_e32 v146, v144
	v_mov_b32_e32 v147, v127
	s_mov_b32 s27, s45
	v_pk_add_f32 v[132:133], v[146:147], v[132:133]
	v_pk_fma_f32 v[146:147], v[56:57], s[24:25], v[128:129] op_sel_hi:[1,0,1] neg_lo:[0,0,1] neg_hi:[0,0,1]
	v_pk_fma_f32 v[128:129], v[56:57], s[24:25], v[128:129] op_sel_hi:[1,0,1]
	v_pk_mul_f32 v[30:31], v[40:41], s[34:35]
	v_pk_mul_f32 v[130:131], v[34:35], s[26:27] op_sel_hi:[1,0]
	v_mov_b32_e32 v150, v146
	v_mov_b32_e32 v151, v129
	v_pk_add_f32 v[132:133], v[150:151], v[132:133]
	v_pk_fma_f32 v[150:151], v[58:59], s[46:47], v[130:131] op_sel_hi:[1,0,1] neg_lo:[0,0,1] neg_hi:[0,0,1]
	v_pk_fma_f32 v[130:131], v[58:59], s[46:47], v[130:131] op_sel_hi:[1,0,1]
	v_pk_fma_f32 v[156:157], v[36:37], s[36:37], v[30:31] neg_lo:[1,0,0] neg_hi:[1,0,0]
	v_pk_fma_f32 v[158:159], v[36:37], s[36:37], v[30:31]
	v_mov_b32_e32 v152, v150
	v_mov_b32_e32 v153, v131
	;; [unrolled: 1-line block ×3, first 2 shown]
	v_pk_fma_f32 v[160:161], v[90:91], s[26:27], v[32:33] neg_lo:[1,0,0] neg_hi:[1,0,0]
	v_pk_fma_f32 v[162:163], v[38:39], s[26:27], v[32:33]
	v_pk_add_f32 v[132:133], v[152:153], v[132:133]
	v_pk_mul_f32 v[152:153], v[44:45], s[0:1] op_sel_hi:[1,0]
	v_pk_add_f32 v[156:157], v[156:157], v[0:1]
	v_mov_b32_e32 v161, v163
	v_pk_add_f32 v[156:157], v[160:161], v[156:157]
	v_pk_fma_f32 v[160:161], v[42:43], s[44:45], v[152:153] op_sel:[0,0,1] op_sel_hi:[1,0,0] neg_lo:[0,0,1] neg_hi:[0,0,1]
	v_pk_fma_f32 v[152:153], v[42:43], s[44:45], v[152:153] op_sel:[0,0,1] op_sel_hi:[1,0,0]
	v_pk_mul_f32 v[154:155], v[76:77], s[56:57] op_sel_hi:[1,0]
	v_mov_b32_e32 v164, v160
	v_mov_b32_e32 v165, v153
	v_pk_add_f32 v[156:157], v[164:165], v[156:157]
	v_pk_fma_f32 v[164:165], v[48:49], s[48:49], v[154:155] op_sel_hi:[1,0,1] neg_lo:[0,0,1] neg_hi:[0,0,1]
	v_pk_fma_f32 v[154:155], v[48:49], s[48:49], v[154:155] op_sel_hi:[1,0,1]
	v_mov_b32_e32 v166, v164
	v_mov_b32_e32 v167, v155
	v_pk_add_f32 v[156:157], v[166:167], v[156:157]
	v_pk_mul_f32 v[166:167], v[74:75], s[42:43] op_sel_hi:[1,0]
	v_pk_mul_f32 v[40:41], v[40:41], s[24:25]
	v_pk_fma_f32 v[168:169], v[50:51], s[54:55], v[166:167] op_sel_hi:[1,0,1] neg_lo:[0,0,1] neg_hi:[0,0,1]
	v_pk_fma_f32 v[166:167], v[50:51], s[54:55], v[166:167] op_sel_hi:[1,0,1]
	v_mov_b32_e32 v170, v168
	v_mov_b32_e32 v171, v167
	v_pk_add_f32 v[156:157], v[170:171], v[156:157]
	v_pk_mul_f32 v[170:171], v[72:73], s[14:15] op_sel_hi:[1,0]
	v_pk_mul_f32 v[44:45], v[44:45], s[36:37] op_sel_hi:[1,0]
	v_pk_fma_f32 v[172:173], v[52:53], s[24:25], v[170:171] op_sel_hi:[1,0,1] neg_lo:[0,0,1] neg_hi:[0,0,1]
	v_pk_fma_f32 v[170:171], v[52:53], s[24:25], v[170:171] op_sel_hi:[1,0,1]
	v_mov_b32_e32 v174, v172
	v_mov_b32_e32 v175, v171
	v_pk_add_f32 v[156:157], v[174:175], v[156:157]
	v_pk_mul_f32 v[174:175], v[68:69], s[38:39] op_sel_hi:[1,0]
	s_mov_b32 s24, s43
	v_pk_fma_f32 v[176:177], v[56:57], s[52:53], v[174:175] op_sel_hi:[1,0,1] neg_lo:[0,0,1] neg_hi:[0,0,1]
	v_pk_fma_f32 v[174:175], v[56:57], s[52:53], v[174:175] op_sel_hi:[1,0,1]
	v_mov_b32_e32 v178, v176
	v_mov_b32_e32 v179, v175
	v_pk_add_f32 v[156:157], v[178:179], v[156:157]
	v_pk_mul_f32 v[178:179], v[34:35], s[30:31] op_sel_hi:[1,0]
	s_mov_b32 s25, s40
	v_pk_fma_f32 v[180:181], v[58:59], s[22:23], v[178:179] op_sel_hi:[1,0,1] neg_lo:[0,0,1] neg_hi:[0,0,1]
	v_pk_fma_f32 v[178:179], v[58:59], s[22:23], v[178:179] op_sel_hi:[1,0,1]
	v_mov_b32_e32 v182, v180
	v_mov_b32_e32 v183, v179
	v_pk_add_f32 v[156:157], v[182:183], v[156:157]
	ds_write2_b64 v81, v[132:133], v[156:157] offset0:6 offset1:7
	v_pk_mul_f32 v[46:47], v[46:47], s[24:25]
	v_pk_fma_f32 v[132:133], v[36:37], s[14:15], v[40:41] neg_lo:[1,0,0] neg_hi:[1,0,0]
	v_pk_fma_f32 v[156:157], v[36:37], s[14:15], v[40:41]
	v_pk_fma_f32 v[90:91], v[90:91], s[40:41], v[46:47] neg_lo:[1,0,0] neg_hi:[1,0,0]
	v_mov_b32_e32 v133, v157
	v_pk_fma_f32 v[182:183], v[38:39], s[40:41], v[46:47]
	v_pk_add_f32 v[132:133], v[132:133], v[0:1]
	v_mov_b32_e32 v91, v183
	v_pk_add_f32 v[90:91], v[90:91], v[132:133]
	v_pk_fma_f32 v[132:133], v[42:43], s[34:35], v[44:45] op_sel:[0,0,1] op_sel_hi:[1,0,0] neg_lo:[0,0,1] neg_hi:[0,0,1]
	v_pk_fma_f32 v[42:43], v[42:43], s[34:35], v[44:45] op_sel:[0,0,1] op_sel_hi:[1,0,0]
	v_mov_b32_e32 v44, v132
	v_mov_b32_e32 v45, v43
	v_pk_mul_f32 v[76:77], v[76:77], s[38:39] op_sel_hi:[1,0]
	v_pk_add_f32 v[44:45], v[44:45], v[90:91]
	v_pk_fma_f32 v[90:91], v[48:49], s[52:53], v[76:77] op_sel_hi:[1,0,1] neg_lo:[0,0,1] neg_hi:[0,0,1]
	v_pk_fma_f32 v[48:49], v[48:49], s[52:53], v[76:77] op_sel_hi:[1,0,1]
	v_mov_b32_e32 v76, v90
	v_mov_b32_e32 v77, v49
	v_pk_mul_f32 v[74:75], v[74:75], s[6:7] op_sel_hi:[1,0]
	v_pk_fma_f32 v[40:41], v[36:37], s[14:15], v[40:41] neg_lo:[0,0,1] neg_hi:[0,0,1]
	v_pk_fma_f32 v[30:31], v[36:37], s[36:37], v[30:31] neg_lo:[0,0,1] neg_hi:[0,0,1]
	;; [unrolled: 1-line block ×5, first 2 shown]
	v_pk_add_f32 v[44:45], v[76:77], v[44:45]
	v_pk_fma_f32 v[76:77], v[50:51], s[48:49], v[74:75] op_sel_hi:[1,0,1] neg_lo:[0,0,1] neg_hi:[0,0,1]
	v_pk_fma_f32 v[50:51], v[50:51], s[48:49], v[74:75] op_sel_hi:[1,0,1]
	v_mov_b32_e32 v157, v41
	v_pk_fma_f32 v[40:41], v[38:39], s[40:41], v[46:47] neg_lo:[0,0,1] neg_hi:[0,0,1]
	v_mov_b32_e32 v159, v31
	v_pk_fma_f32 v[32:33], v[38:39], s[26:27], v[32:33] neg_lo:[0,0,1] neg_hi:[0,0,1]
	v_mov_b32_e32 v135, v27
	v_pk_fma_f32 v[28:29], v[38:39], s[18:19], v[28:29] neg_lo:[0,0,1] neg_hi:[0,0,1]
	v_mov_b32_e32 v85, v23
	v_pk_fma_f32 v[24:25], v[38:39], s[16:17], v[24:25] neg_lo:[0,0,1] neg_hi:[0,0,1]
	v_mov_b32_e32 v5, v21
	v_pk_fma_f32 v[2:3], v[38:39], s[14:15], v[2:3] neg_lo:[0,0,1] neg_hi:[0,0,1]
	v_mov_b32_e32 v74, v76
	v_mov_b32_e32 v75, v51
	v_pk_mul_f32 v[72:73], v[72:73], s[26:27] op_sel_hi:[1,0]
	v_mov_b32_e32 v183, v41
	v_pk_add_f32 v[40:41], v[156:157], v[0:1]
	v_pk_add_f32 v[30:31], v[158:159], v[0:1]
	v_mov_b32_e32 v163, v33
	v_pk_add_f32 v[26:27], v[134:135], v[0:1]
	v_mov_b32_e32 v139, v29
	;; [unrolled: 2-line block ×4, first 2 shown]
	v_pk_add_f32 v[44:45], v[74:75], v[44:45]
	v_pk_fma_f32 v[74:75], v[52:53], s[46:47], v[72:73] op_sel_hi:[1,0,1] neg_lo:[0,0,1] neg_hi:[0,0,1]
	v_pk_fma_f32 v[52:53], v[52:53], s[46:47], v[72:73] op_sel_hi:[1,0,1]
	v_pk_add_f32 v[40:41], v[182:183], v[40:41]
	v_mov_b32_e32 v43, v133
	v_pk_add_f32 v[30:31], v[162:163], v[30:31]
	v_mov_b32_e32 v153, v161
	;; [unrolled: 2-line block ×5, first 2 shown]
	v_mov_b32_e32 v72, v74
	v_mov_b32_e32 v73, v53
	v_pk_mul_f32 v[68:69], v[68:69], s[30:31] op_sel_hi:[1,0]
	v_pk_add_f32 v[40:41], v[42:43], v[40:41]
	v_mov_b32_e32 v49, v91
	v_pk_add_f32 v[30:31], v[152:153], v[30:31]
	v_mov_b32_e32 v155, v165
	;; [unrolled: 2-line block ×5, first 2 shown]
	v_pk_add_f32 v[44:45], v[72:73], v[44:45]
	v_pk_fma_f32 v[72:73], v[56:57], s[22:23], v[68:69] op_sel_hi:[1,0,1] neg_lo:[0,0,1] neg_hi:[0,0,1]
	v_pk_fma_f32 v[56:57], v[56:57], s[22:23], v[68:69] op_sel_hi:[1,0,1]
	v_pk_add_f32 v[40:41], v[48:49], v[40:41]
	v_mov_b32_e32 v51, v77
	v_pk_add_f32 v[30:31], v[154:155], v[30:31]
	v_mov_b32_e32 v167, v169
	;; [unrolled: 2-line block ×5, first 2 shown]
	v_mov_b32_e32 v68, v72
	v_mov_b32_e32 v69, v57
	v_pk_mul_f32 v[34:35], v[34:35], s[50:51] op_sel_hi:[1,0]
	v_pk_add_f32 v[40:41], v[50:51], v[40:41]
	v_mov_b32_e32 v53, v75
	v_pk_add_f32 v[30:31], v[166:167], v[30:31]
	v_mov_b32_e32 v171, v173
	;; [unrolled: 2-line block ×5, first 2 shown]
	v_pk_add_f32 v[44:45], v[68:69], v[44:45]
	v_pk_fma_f32 v[68:69], v[58:59], s[44:45], v[34:35] op_sel_hi:[1,0,1] neg_lo:[0,0,1] neg_hi:[0,0,1]
	v_pk_fma_f32 v[34:35], v[58:59], s[44:45], v[34:35] op_sel_hi:[1,0,1]
	v_pk_add_f32 v[40:41], v[52:53], v[40:41]
	v_mov_b32_e32 v57, v73
	v_pk_add_f32 v[30:31], v[170:171], v[30:31]
	v_mov_b32_e32 v175, v177
	;; [unrolled: 2-line block ×5, first 2 shown]
	v_mov_b32_e32 v58, v68
	v_mov_b32_e32 v59, v35
	v_pk_add_f32 v[40:41], v[56:57], v[40:41]
	v_mov_b32_e32 v35, v69
	v_pk_add_f32 v[30:31], v[174:175], v[30:31]
	;; [unrolled: 2-line block ×6, first 2 shown]
	v_pk_add_f32 v[34:35], v[34:35], v[40:41]
	v_pk_add_f32 v[30:31], v[178:179], v[30:31]
	;; [unrolled: 1-line block ×5, first 2 shown]
	ds_write2_b64 v81, v[44:45], v[34:35] offset0:8 offset1:9
	ds_write2_b64 v81, v[30:31], v[26:27] offset0:10 offset1:11
	;; [unrolled: 1-line block ×4, first 2 shown]
	ds_write_b64 v81, v[148:149] offset:128
.LBB0_7:
	s_or_b64 exec, exec, s[20:21]
	s_mov_b64 s[0:1], 0x1dc
	v_lshl_add_u64 v[0:1], v[82:83], 0, s[0:1]
	s_mov_b64 s[0:1], 0x253
	v_lshl_add_u64 v[2:3], v[82:83], 0, s[0:1]
	s_mov_b64 s[0:1], 0x2ca
	s_mov_b32 s14, 0xf0f1
	v_lshl_add_u64 v[4:5], v[82:83], 0, s[0:1]
	v_mul_u32_u24_sdwa v1, v0, s14 dst_sel:DWORD dst_unused:UNUSED_PAD src0_sel:WORD_0 src1_sel:DWORD
	v_lshrrev_b32_e32 v12, 20, v1
	v_mul_u32_u24_sdwa v3, v4, s14 dst_sel:DWORD dst_unused:UNUSED_PAD src0_sel:WORD_0 src1_sel:DWORD
	v_mul_lo_u16_e32 v1, 17, v12
	v_lshrrev_b32_e32 v14, 20, v3
	v_sub_u16_e32 v13, v0, v1
	v_mul_u32_u24_sdwa v1, v2, s14 dst_sel:DWORD dst_unused:UNUSED_PAD src0_sel:WORD_0 src1_sel:DWORD
	v_mul_lo_u16_e32 v3, 17, v14
	v_sub_u16_e32 v15, v4, v3
	v_lshrrev_b32_e32 v16, 20, v1
	v_lshlrev_b32_e32 v3, 3, v15
	v_mul_lo_u16_e32 v1, 17, v16
	s_load_dwordx4 s[4:7], s[4:5], 0x0
	s_waitcnt lgkmcnt(0)
	s_barrier
	global_load_dwordx2 v[98:99], v3, s[10:11]
	v_sub_u16_e32 v17, v2, v1
	v_lshlrev_b32_e32 v0, 3, v13
	v_lshlrev_b32_e32 v1, 3, v17
	s_mov_b64 s[0:1], 0xee
	global_load_dwordx2 v[90:91], v0, s[10:11]
	global_load_dwordx2 v[96:97], v1, s[10:11]
	v_lshl_add_u64 v[0:1], v[82:83], 0, s[0:1]
	s_mov_b64 s[0:1], 0x165
	v_lshl_add_u64 v[2:3], v[82:83], 0, s[0:1]
	v_mul_u32_u24_sdwa v1, v0, s14 dst_sel:DWORD dst_unused:UNUSED_PAD src0_sel:WORD_0 src1_sel:DWORD
	v_mul_u32_u24_sdwa v3, v2, s14 dst_sel:DWORD dst_unused:UNUSED_PAD src0_sel:WORD_0 src1_sel:DWORD
	v_lshrrev_b32_e32 v18, 20, v1
	v_lshrrev_b32_e32 v19, 20, v3
	v_mul_lo_u16_e32 v1, 17, v18
	v_mul_lo_u16_e32 v3, 17, v19
	v_sub_u16_e32 v20, v2, v3
	v_sub_u16_e32 v21, v0, v1
	s_movk_i32 s0, 0xf1
	v_add_u16_e32 v36, 0x77, v82
	v_lshlrev_b32_e32 v2, 3, v20
	v_lshlrev_b32_e32 v0, 3, v21
	v_mul_lo_u16_sdwa v37, v36, s0 dst_sel:DWORD dst_unused:UNUSED_PAD src0_sel:BYTE_0 src1_sel:DWORD
	global_load_dwordx2 v[94:95], v2, s[10:11]
	global_load_dwordx2 v[88:89], v0, s[10:11]
	v_lshrrev_b16_e32 v0, 12, v37
	v_mul_lo_u16_e32 v1, 17, v0
	v_sub_u16_e32 v1, v36, v1
	v_and_b32_e32 v22, 0xff, v1
	v_lshlrev_b32_e32 v1, 3, v22
	v_mul_lo_u16_sdwa v38, v82, s0 dst_sel:DWORD dst_unused:UNUSED_PAD src0_sel:BYTE_0 src1_sel:DWORD
	global_load_dwordx2 v[126:127], v1, s[10:11]
	v_lshrrev_b16_e32 v1, 12, v38
	v_mul_lo_u16_e32 v2, 17, v1
	v_sub_u16_e32 v2, v82, v2
	v_and_b32_e32 v23, 0xff, v2
	v_lshlrev_b32_e32 v2, 3, v23
	global_load_dwordx2 v[92:93], v2, s[10:11]
	v_mov_b32_e32 v2, 3
	v_lshlrev_b32_sdwa v83, v2, v82 dst_sel:DWORD dst_unused:UNUSED_PAD src0_sel:DWORD src1_sel:WORD_0
	v_add_u32_e32 v84, 0x1400, v83
	v_add_u32_e32 v81, 0x2c00, v83
	v_mul_lo_u16_e32 v24, 34, v1
	v_mul_u32_u24_e32 v25, 34, v0
	ds_read2_b64 v[0:3], v84 offset0:74 offset1:193
	ds_read2_b64 v[4:7], v81 offset0:20 offset1:139
	v_mad_legacy_u16 v12, v12, 34, v13
	v_mad_legacy_u16 v13, v16, 34, v17
	;; [unrolled: 1-line block ×5, first 2 shown]
	v_lshlrev_b32_e32 v131, 3, v12
	v_lshlrev_b32_e32 v130, 3, v13
	v_add_u32_e32 v102, 0x2400, v83
	v_lshlrev_b32_e32 v133, 3, v18
	v_lshlrev_b32_e32 v132, 3, v19
	;; [unrolled: 1-line block ×3, first 2 shown]
	ds_read2_b64 v[16:19], v102 offset0:38 offset1:157
	v_and_b32_e32 v24, 0xfe, v24
	v_add_u32_e32 v85, 0xc00, v83
	v_add_lshl_u32 v119, v24, v23, 3
	v_add_lshl_u32 v128, v25, v22, 3
	v_add_u32_e32 v104, 0x1c00, v83
	v_add_u32_e32 v103, 0x400, v83
	v_lshrrev_b16_e32 v48, 13, v38
	v_lshrrev_b16_e32 v50, 13, v37
	s_mov_b32 s20, 0x3d64c772
	s_mov_b32 s21, 0x3f4a47b2
	;; [unrolled: 1-line block ×8, first 2 shown]
	v_lshlrev_b32_e32 v101, 3, v82
	s_waitcnt vmcnt(6) lgkmcnt(1)
	v_pk_mul_f32 v[12:13], v[6:7], v[98:99] op_sel:[0,1]
	s_nop 0
	v_pk_fma_f32 v[14:15], v[6:7], v[98:99], v[12:13] op_sel:[0,0,1] op_sel_hi:[1,1,0] neg_lo:[0,0,1] neg_hi:[0,0,1]
	v_pk_fma_f32 v[6:7], v[6:7], v[98:99], v[12:13] op_sel:[0,0,1] op_sel_hi:[1,0,0]
	s_waitcnt vmcnt(3) lgkmcnt(0)
	v_pk_mul_f32 v[22:23], v[16:17], v[94:95] op_sel:[0,1]
	v_mov_b32_e32 v15, v7
	v_pk_add_f32 v[24:25], v[0:1], v[14:15] neg_lo:[0,1] neg_hi:[0,1]
	ds_read2_b64 v[12:15], v85 offset0:92 offset1:211
	v_pk_mul_f32 v[6:7], v[4:5], v[96:97] op_sel:[0,1]
	v_pk_fma_f32 v[30:31], v[16:17], v[94:95], v[22:23] op_sel:[0,0,1] op_sel_hi:[1,1,0] neg_lo:[0,0,1] neg_hi:[0,0,1]
	v_pk_fma_f32 v[20:21], v[4:5], v[96:97], v[6:7] op_sel:[0,0,1] op_sel_hi:[1,1,0] neg_lo:[0,0,1] neg_hi:[0,0,1]
	v_pk_fma_f32 v[4:5], v[4:5], v[96:97], v[6:7] op_sel:[0,0,1] op_sel_hi:[1,0,0]
	v_pk_fma_f32 v[16:17], v[16:17], v[94:95], v[22:23] op_sel:[0,0,1] op_sel_hi:[1,0,0]
	v_mov_b32_e32 v21, v5
	v_pk_mul_f32 v[4:5], v[18:19], v[90:91] op_sel:[0,1]
	s_waitcnt lgkmcnt(0)
	v_pk_add_f32 v[26:27], v[14:15], v[20:21] neg_lo:[0,1] neg_hi:[0,1]
	v_pk_fma_f32 v[6:7], v[18:19], v[90:91], v[4:5] op_sel:[0,0,1] op_sel_hi:[1,1,0] neg_lo:[0,0,1] neg_hi:[0,0,1]
	v_pk_fma_f32 v[4:5], v[18:19], v[90:91], v[4:5] op_sel:[0,0,1] op_sel_hi:[1,0,0]
	ds_read2_b64 v[18:21], v104 offset0:56 offset1:175
	v_mov_b32_e32 v7, v5
	v_pk_add_f32 v[28:29], v[12:13], v[6:7] neg_lo:[0,1] neg_hi:[0,1]
	ds_read2_b64 v[4:7], v103 offset0:110 offset1:229
	v_mov_b32_e32 v31, v17
	s_waitcnt vmcnt(2) lgkmcnt(1)
	v_pk_mul_f32 v[22:23], v[20:21], v[88:89] op_sel:[0,1]
	s_waitcnt vmcnt(1)
	v_pk_mul_f32 v[32:33], v[18:19], v[126:127] op_sel:[0,1]
	v_pk_fma_f32 v[0:1], v[0:1], 2.0, v[24:25] op_sel_hi:[1,0,1] neg_lo:[0,0,1] neg_hi:[0,0,1]
	s_waitcnt lgkmcnt(0)
	v_pk_add_f32 v[16:17], v[6:7], v[30:31] neg_lo:[0,1] neg_hi:[0,1]
	v_pk_fma_f32 v[30:31], v[20:21], v[88:89], v[22:23] op_sel:[0,0,1] op_sel_hi:[1,1,0] neg_lo:[0,0,1] neg_hi:[0,0,1]
	v_pk_fma_f32 v[20:21], v[20:21], v[88:89], v[22:23] op_sel:[0,0,1] op_sel_hi:[1,0,0]
	v_pk_fma_f32 v[34:35], v[18:19], v[126:127], v[32:33] op_sel:[0,0,1] op_sel_hi:[1,1,0] neg_lo:[0,0,1] neg_hi:[0,0,1]
	v_mov_b32_e32 v31, v21
	ds_read2_b64 v[20:23], v83 offset1:119
	v_pk_fma_f32 v[18:19], v[18:19], v[126:127], v[32:33] op_sel:[0,0,1] op_sel_hi:[1,0,0]
	s_waitcnt vmcnt(0)
	v_pk_mul_f32 v[32:33], v[2:3], v[92:93] op_sel:[0,1]
	v_mov_b32_e32 v35, v19
	v_pk_add_f32 v[30:31], v[4:5], v[30:31] neg_lo:[0,1] neg_hi:[0,1]
	s_waitcnt lgkmcnt(0)
	v_pk_add_f32 v[18:19], v[22:23], v[34:35] neg_lo:[0,1] neg_hi:[0,1]
	v_pk_fma_f32 v[34:35], v[2:3], v[92:93], v[32:33] op_sel:[0,0,1] op_sel_hi:[1,1,0] neg_lo:[0,0,1] neg_hi:[0,0,1]
	v_pk_fma_f32 v[2:3], v[2:3], v[92:93], v[32:33] op_sel:[0,0,1] op_sel_hi:[1,0,0]
	v_pk_fma_f32 v[22:23], v[22:23], 2.0, v[18:19] op_sel_hi:[1,0,1] neg_lo:[0,0,1] neg_hi:[0,0,1]
	v_mov_b32_e32 v35, v3
	v_pk_add_f32 v[2:3], v[20:21], v[34:35] neg_lo:[0,1] neg_hi:[0,1]
	s_nop 0
	v_pk_fma_f32 v[20:21], v[20:21], 2.0, v[2:3] op_sel_hi:[1,0,1] neg_lo:[0,0,1] neg_hi:[0,0,1]
	s_barrier
	ds_write2_b64 v119, v[20:21], v[2:3] offset1:17
	ds_write2_b64 v128, v[22:23], v[18:19] offset1:17
	v_pk_fma_f32 v[2:3], v[4:5], 2.0, v[30:31] op_sel_hi:[1,0,1] neg_lo:[0,0,1] neg_hi:[0,0,1]
	ds_write2_b64 v133, v[2:3], v[30:31] offset1:17
	v_pk_fma_f32 v[2:3], v[6:7], 2.0, v[16:17] op_sel_hi:[1,0,1] neg_lo:[0,0,1] neg_hi:[0,0,1]
	;; [unrolled: 2-line block ×4, first 2 shown]
	ds_write2_b64 v130, v[2:3], v[26:27] offset1:17
	ds_write2_b64 v129, v[0:1], v[24:25] offset1:17
	v_mul_lo_u16_e32 v0, 34, v48
	v_sub_u16_e32 v0, v82, v0
	v_and_b32_e32 v49, 0xff, v0
	v_mad_u64_u32 v[0:1], s[0:1], v49, 48, s[10:11]
	s_waitcnt lgkmcnt(0)
	s_barrier
	global_load_dwordx4 v[20:23], v[0:1], off offset:168
	global_load_dwordx4 v[28:31], v[0:1], off offset:152
	;; [unrolled: 1-line block ×3, first 2 shown]
	v_mul_lo_u16_e32 v0, 34, v50
	v_sub_u16_e32 v0, v36, v0
	v_and_b32_e32 v52, 0xff, v0
	v_mad_u64_u32 v[12:13], s[0:1], v52, 48, s[10:11]
	global_load_dwordx4 v[32:35], v[12:13], off offset:152
	global_load_dwordx4 v[4:7], v[12:13], off offset:136
	;; [unrolled: 1-line block ×3, first 2 shown]
	ds_read2_b64 v[14:17], v84 offset0:74 offset1:193
	ds_read2_b64 v[36:39], v104 offset0:56 offset1:175
	;; [unrolled: 1-line block ×5, first 2 shown]
	s_mov_b32 s0, 0x3eae86e6
	s_mov_b32 s1, 0xbf08b237
	;; [unrolled: 1-line block ×4, first 2 shown]
	s_waitcnt vmcnt(4) lgkmcnt(3)
	v_mul_f32_e32 v63, v37, v30
	s_waitcnt vmcnt(3) lgkmcnt(2)
	v_mul_f32_e32 v12, v41, v27
	v_fma_f32 v18, v40, v26, -v12
	s_waitcnt lgkmcnt(1)
	v_mul_f32_e32 v12, v45, v21
	v_fma_f32 v60, v44, v20, -v12
	s_waitcnt vmcnt(2)
	v_mul_f32_e32 v71, v39, v34
	s_waitcnt vmcnt(1)
	v_mul_f32_e32 v12, v43, v7
	v_fma_f32 v66, v42, v6, -v12
	s_waitcnt vmcnt(0)
	v_mul_f32_e32 v12, v47, v1
	v_fma_f32 v68, v46, v0, -v12
	v_mul_u32_u24_e32 v12, 0xee, v48
	v_add_lshl_u32 v117, v12, v49, 3
	v_mul_u32_u24_e32 v12, 0xee, v50
	ds_read2_b64 v[48:51], v103 offset0:110 offset1:229
	v_mul_f32_e32 v73, v38, v35
	v_mov_b32_e32 v78, v6
	v_mov_b32_e32 v79, v34
	v_mul_f32_e32 v67, v17, v32
	s_waitcnt lgkmcnt(0)
	v_pk_mul_f32 v[74:75], v[50:51], v[4:5] op_sel_hi:[1,0]
	v_mul_f32_e32 v69, v16, v33
	v_pk_fma_f32 v[76:77], v[50:51], v[4:5], v[74:75] op_sel:[0,1,1] op_sel_hi:[1,1,0]
	v_pk_fma_f32 v[50:51], v[50:51], v[4:5], v[74:75] op_sel:[0,1,1] op_sel_hi:[1,1,0] neg_lo:[1,0,0] neg_hi:[1,0,0]
	v_mov_b32_e32 v74, v43
	v_mov_b32_e32 v75, v38
	;; [unrolled: 1-line block ×5, first 2 shown]
	v_pk_mul_f32 v[38:39], v[42:43], v[38:39]
	v_mov_b32_e32 v77, v51
	v_pk_fma_f32 v[42:43], v[74:75], v[6:7], v[38:39]
	v_pk_fma_f32 v[38:39], v[74:75], v[78:79], v[38:39] neg_lo:[0,0,1] neg_hi:[0,0,1]
	v_mov_b32_e32 v74, v47
	v_mov_b32_e32 v75, v16
	;; [unrolled: 1-line block ×7, first 2 shown]
	v_pk_mul_f32 v[16:17], v[46:47], v[16:17]
	v_mov_b32_e32 v43, v39
	v_pk_fma_f32 v[46:47], v[74:75], v[0:1], v[16:17]
	v_pk_fma_f32 v[16:17], v[74:75], v[78:79], v[16:17] neg_lo:[0,0,1] neg_hi:[0,0,1]
	v_pk_mul_f32 v[74:75], v[58:59], v[2:3] op_sel_hi:[1,0]
	v_mov_b32_e32 v16, v3
	v_pk_fma_f32 v[78:79], v[58:59], v[16:17], v[74:75] op_sel:[0,0,1] op_sel_hi:[1,0,0]
	v_pk_fma_f32 v[58:59], v[58:59], v[16:17], v[74:75] op_sel:[0,0,1] op_sel_hi:[1,0,0] neg_lo:[1,0,0] neg_hi:[1,0,0]
	v_mov_b32_e32 v47, v17
	v_mov_b32_e32 v79, v59
	v_mov_b32_e32 v70, v51
	v_mov_b32_e32 v72, v59
	v_pk_mul_f32 v[110:111], v[48:49], v[24:25] op_sel_hi:[1,0]
	v_mul_f32_e32 v65, v36, v31
	v_add_lshl_u32 v116, v12, v52, 3
	ds_read2_b64 v[52:55], v83 offset1:119
	v_pk_add_f32 v[12:13], v[66:67], v[68:69]
	v_pk_add_f32 v[74:75], v[76:77], v[78:79]
	v_pk_add_f32 v[76:77], v[76:77], v[78:79] neg_lo:[0,1] neg_hi:[0,1]
	v_pk_add_f32 v[78:79], v[42:43], v[46:47]
	v_pk_add_f32 v[42:43], v[42:43], v[46:47] neg_lo:[0,1] neg_hi:[0,1]
	v_pk_add_f32 v[46:47], v[70:71], v[72:73]
	v_pk_fma_f32 v[112:113], v[48:49], v[24:25], v[110:111] op_sel:[0,1,1] op_sel_hi:[1,1,0]
	v_pk_fma_f32 v[48:49], v[48:49], v[24:25], v[110:111] op_sel:[0,1,1] op_sel_hi:[1,1,0] neg_lo:[1,0,0] neg_hi:[1,0,0]
	v_mov_b32_e32 v110, v41
	v_mov_b32_e32 v111, v36
	;; [unrolled: 1-line block ×15, first 2 shown]
	v_pk_mul_f32 v[36:37], v[40:41], v[36:37]
	v_mul_f32_e32 v19, v15, v28
	v_mul_f32_e32 v61, v14, v29
	v_pk_add_f32 v[50:51], v[50:51], v[58:59] neg_lo:[0,1] neg_hi:[0,1]
	v_pk_add_f32 v[72:73], v[12:13], v[46:47]
	v_pk_add_f32 v[16:17], v[16:17], v[38:39]
	v_pk_fma_f32 v[40:41], v[110:111], v[26:27], v[36:37]
	v_pk_fma_f32 v[36:37], v[110:111], v[114:115], v[36:37] neg_lo:[0,0,1] neg_hi:[0,0,1]
	v_mov_b32_e32 v110, v45
	v_mov_b32_e32 v111, v14
	;; [unrolled: 1-line block ×11, first 2 shown]
	v_pk_mul_f32 v[14:15], v[44:45], v[14:15]
	v_mov_b32_e32 v58, v76
	v_mov_b32_e32 v59, v43
	v_pk_add_f32 v[68:69], v[68:69], v[42:43] neg_lo:[0,1] neg_hi:[0,1]
	v_pk_add_f32 v[38:39], v[38:39], v[12:13] neg_lo:[0,1] neg_hi:[0,1]
	v_mov_b32_e32 v47, v73
	v_mov_b32_e32 v106, v16
	;; [unrolled: 1-line block ×3, first 2 shown]
	v_pk_add_f32 v[16:17], v[72:73], v[16:17]
	v_pk_fma_f32 v[44:45], v[110:111], v[20:21], v[14:15]
	v_pk_fma_f32 v[14:15], v[110:111], v[114:115], v[14:15] neg_lo:[0,0,1] neg_hi:[0,0,1]
	v_pk_add_f32 v[58:59], v[58:59], v[50:51] neg_lo:[0,1] neg_hi:[0,1]
	v_pk_mul_f32 v[68:69], v[68:69], s[16:17]
	v_pk_add_f32 v[70:71], v[42:43], v[50:51]
	v_pk_add_f32 v[106:107], v[46:47], v[106:107] neg_lo:[0,1] neg_hi:[0,1]
	s_waitcnt lgkmcnt(0)
	v_pk_add_f32 v[54:55], v[54:55], v[16:17]
	v_pk_mul_f32 v[38:39], v[38:39], s[20:21]
	v_pk_mul_f32 v[110:111], v[56:57], v[22:23] op_sel_hi:[1,0]
	v_mov_b32_e32 v14, v23
	v_pk_mul_f32 v[66:67], v[58:59], s[0:1]
	v_pk_add_f32 v[70:71], v[70:71], v[76:77]
	v_pk_mul_f32 v[72:73], v[106:107], s[22:23]
	v_pk_fma_f32 v[16:17], v[16:17], s[18:19], v[54:55] op_sel_hi:[1,0,1] neg_lo:[1,0,0] neg_hi:[1,0,0]
	v_pk_fma_f32 v[106:107], v[106:107], s[22:23], v[38:39]
	v_pk_fma_f32 v[58:59], v[58:59], s[0:1], v[68:69]
	v_pk_fma_f32 v[114:115], v[56:57], v[14:15], v[110:111] op_sel:[0,0,1] op_sel_hi:[1,0,0]
	v_pk_fma_f32 v[56:57], v[56:57], v[14:15], v[110:111] op_sel:[0,0,1] op_sel_hi:[1,0,0] neg_lo:[1,0,0] neg_hi:[1,0,0]
	v_pk_add_f32 v[106:107], v[106:107], v[16:17]
	v_pk_fma_f32 v[58:59], v[70:71], s[14:15], v[58:59] op_sel_hi:[1,0,1]
	v_mov_b32_e32 v113, v49
	v_mov_b32_e32 v41, v37
	;; [unrolled: 1-line block ×6, first 2 shown]
	v_pk_add_f32 v[108:109], v[106:107], v[58:59]
	v_pk_add_f32 v[58:59], v[106:107], v[58:59] neg_lo:[0,1] neg_hi:[0,1]
	v_pk_add_f32 v[106:107], v[18:19], v[60:61]
	v_pk_add_f32 v[110:111], v[112:113], v[114:115]
	v_pk_add_f32 v[112:113], v[112:113], v[114:115] neg_lo:[0,1] neg_hi:[0,1]
	v_pk_add_f32 v[114:115], v[40:41], v[44:45]
	v_pk_add_f32 v[40:41], v[40:41], v[44:45] neg_lo:[0,1] neg_hi:[0,1]
	v_pk_add_f32 v[44:45], v[62:63], v[64:65]
	v_mov_b32_e32 v49, v18
	v_mov_b32_e32 v48, v45
	;; [unrolled: 1-line block ×8, first 2 shown]
	v_pk_add_f32 v[18:19], v[48:49], v[18:19] neg_lo:[0,1] neg_hi:[0,1]
	v_pk_add_f32 v[64:65], v[106:107], v[44:45]
	v_pk_add_f32 v[14:15], v[14:15], v[36:37]
	v_mov_b32_e32 v60, v18
	v_mov_b32_e32 v61, v113
	;; [unrolled: 1-line block ×6, first 2 shown]
	v_pk_add_f32 v[60:61], v[60:61], v[40:41] neg_lo:[0,1] neg_hi:[0,1]
	v_pk_add_f32 v[36:37], v[36:37], v[106:107] neg_lo:[0,1] neg_hi:[0,1]
	v_mov_b32_e32 v45, v65
	v_mov_b32_e32 v120, v14
	;; [unrolled: 1-line block ×3, first 2 shown]
	v_pk_add_f32 v[14:15], v[64:65], v[14:15]
	v_pk_add_f32 v[48:49], v[48:49], v[18:19] neg_lo:[0,1] neg_hi:[0,1]
	v_pk_mul_f32 v[60:61], v[60:61], s[16:17]
	v_pk_add_f32 v[62:63], v[40:41], v[18:19]
	v_pk_add_f32 v[120:121], v[44:45], v[120:121] neg_lo:[0,1] neg_hi:[0,1]
	v_pk_add_f32 v[52:53], v[52:53], v[14:15]
	v_pk_mul_f32 v[36:37], v[36:37], s[20:21]
	v_pk_mul_f32 v[56:57], v[48:49], s[0:1]
	v_pk_add_f32 v[62:63], v[62:63], v[112:113]
	v_pk_mul_f32 v[64:65], v[120:121], s[22:23]
	v_pk_fma_f32 v[14:15], v[14:15], s[18:19], v[52:53] op_sel_hi:[1,0,1] neg_lo:[1,0,0] neg_hi:[1,0,0]
	v_pk_fma_f32 v[120:121], v[120:121], s[22:23], v[36:37]
	v_pk_fma_f32 v[48:49], v[48:49], s[0:1], v[60:61]
	v_pk_add_f32 v[120:121], v[120:121], v[14:15]
	v_pk_fma_f32 v[48:49], v[62:63], s[14:15], v[48:49] op_sel_hi:[1,0,1]
	v_mov_b32_e32 v41, v19
	v_pk_add_f32 v[122:123], v[120:121], v[48:49]
	v_pk_add_f32 v[48:49], v[120:121], v[48:49] neg_lo:[0,1] neg_hi:[0,1]
	v_mov_b32_e32 v120, v122
	v_mov_b32_e32 v121, v49
	;; [unrolled: 1-line block ×4, first 2 shown]
	s_barrier
	ds_write2_b64 v117, v[52:53], v[120:121] offset1:34
	v_pk_add_f32 v[18:19], v[40:41], v[112:113] neg_lo:[0,1] neg_hi:[0,1]
	v_pk_add_f32 v[40:41], v[106:107], v[44:45] neg_lo:[0,1] neg_hi:[0,1]
	v_mov_b32_e32 v44, v64
	v_mov_b32_e32 v45, v37
	;; [unrolled: 1-line block ×6, first 2 shown]
	v_pk_fma_f32 v[44:45], v[40:41], s[26:27], v[44:45] op_sel_hi:[1,0,1] neg_lo:[1,0,1] neg_hi:[1,0,1]
	v_pk_fma_f32 v[52:53], v[18:19], s[24:25], v[52:53] op_sel_hi:[1,0,1] neg_lo:[1,0,1] neg_hi:[1,0,1]
	;; [unrolled: 1-line block ×4, first 2 shown]
	v_pk_add_f32 v[44:45], v[44:45], v[14:15]
	v_pk_fma_f32 v[52:53], v[62:63], s[14:15], v[52:53] op_sel_hi:[1,0,1]
	v_pk_add_f32 v[14:15], v[36:37], v[14:15]
	v_pk_fma_f32 v[18:19], v[62:63], s[14:15], v[18:19] op_sel_hi:[1,0,1]
	v_pk_add_f32 v[106:107], v[44:45], v[52:53]
	v_pk_add_f32 v[44:45], v[44:45], v[52:53] neg_lo:[0,1] neg_hi:[0,1]
	v_pk_add_f32 v[36:37], v[14:15], v[18:19] neg_lo:[0,1] neg_hi:[0,1]
	v_pk_add_f32 v[14:15], v[14:15], v[18:19]
	v_mov_b32_e32 v53, v45
	v_mov_b32_e32 v19, v15
	;; [unrolled: 1-line block ×6, first 2 shown]
	ds_write2_b64 v117, v[14:15], v[44:45] offset0:136 offset1:170
	v_mov_b32_e32 v49, v123
	v_mov_b32_e32 v14, v108
	;; [unrolled: 1-line block ×6, first 2 shown]
	ds_write2_b64 v117, v[52:53], v[18:19] offset0:68 offset1:102
	ds_write_b64 v117, v[48:49] offset:1632
	ds_write2_b64 v116, v[54:55], v[14:15] offset1:34
	v_pk_add_f32 v[14:15], v[42:43], v[76:77] neg_lo:[0,1] neg_hi:[0,1]
	v_pk_add_f32 v[12:13], v[12:13], v[46:47] neg_lo:[0,1] neg_hi:[0,1]
	v_mov_b32_e32 v18, v72
	v_mov_b32_e32 v19, v39
	;; [unrolled: 1-line block ×6, first 2 shown]
	v_pk_fma_f32 v[18:19], v[12:13], s[26:27], v[18:19] op_sel_hi:[1,0,1] neg_lo:[1,0,1] neg_hi:[1,0,1]
	v_pk_fma_f32 v[36:37], v[14:15], s[24:25], v[36:37] op_sel_hi:[1,0,1] neg_lo:[1,0,1] neg_hi:[1,0,1]
	v_pk_fma_f32 v[12:13], v[12:13], s[26:27], v[38:39] op_sel_hi:[1,0,1] neg_lo:[0,0,1] neg_hi:[0,0,1]
	v_pk_fma_f32 v[14:15], v[14:15], s[24:25], v[68:69] op_sel_hi:[1,0,1] neg_lo:[0,0,1] neg_hi:[0,0,1]
	v_pk_add_f32 v[18:19], v[18:19], v[16:17]
	v_pk_fma_f32 v[36:37], v[70:71], s[14:15], v[36:37] op_sel_hi:[1,0,1]
	v_pk_add_f32 v[12:13], v[12:13], v[16:17]
	v_pk_fma_f32 v[14:15], v[70:71], s[14:15], v[14:15] op_sel_hi:[1,0,1]
	v_mad_u64_u32 v[52:53], s[10:11], v82, 48, s[10:11]
	v_pk_add_f32 v[40:41], v[18:19], v[36:37]
	v_pk_add_f32 v[18:19], v[18:19], v[36:37] neg_lo:[0,1] neg_hi:[0,1]
	v_pk_add_f32 v[16:17], v[12:13], v[14:15] neg_lo:[0,1] neg_hi:[0,1]
	v_pk_add_f32 v[12:13], v[12:13], v[14:15]
	s_mov_b64 s[10:11], 0x1d38
	v_mov_b32_e32 v36, v40
	v_mov_b32_e32 v37, v19
	;; [unrolled: 1-line block ×7, first 2 shown]
	v_lshl_add_u64 v[54:55], v[52:53], 0, s[10:11]
	ds_write2_b64 v116, v[36:37], v[14:15] offset0:68 offset1:102
	ds_write2_b64 v116, v[12:13], v[18:19] offset0:136 offset1:170
	ds_write_b64 v116, v[58:59] offset:1632
	s_waitcnt lgkmcnt(0)
	s_barrier
	global_load_dwordx4 v[44:47], v[54:55], off offset:16
	s_movk_i32 s10, 0x1000
	v_add_co_u32_e32 v56, vcc, s10, v52
	s_nop 1
	v_addc_co_u32_e32 v57, vcc, 0, v53, vcc
	global_load_dwordx4 v[16:19], v[56:57], off offset:3384
	global_load_dwordx4 v[12:15], v[54:55], off offset:32
	;; [unrolled: 1-line block ×5, first 2 shown]
	ds_read2_b64 v[56:59], v83 offset1:119
	ds_read2_b64 v[52:55], v103 offset0:110 offset1:229
	ds_read2_b64 v[60:63], v84 offset0:74 offset1:193
	;; [unrolled: 1-line block ×6, first 2 shown]
	s_waitcnt vmcnt(5) lgkmcnt(4)
	v_mul_f32_e32 v86, v63, v45
	v_fma_f32 v106, v62, v44, -v86
	v_mul_f32_e32 v109, v62, v45
	s_waitcnt lgkmcnt(2)
	v_mul_f32_e32 v62, v71, v47
	v_fma_f32 v110, v70, v46, -v62
	v_mul_f32_e32 v113, v70, v47
	s_waitcnt vmcnt(4)
	v_mul_f32_e32 v62, v55, v17
	v_fmac_f32_e32 v113, v71, v46
	v_fma_f32 v71, v54, v16, -v62
	v_mul_f32_e32 v70, v54, v17
	v_mul_f32_e32 v54, v67, v19
	v_fma_f32 v115, v66, v18, -v54
	s_waitcnt vmcnt(3) lgkmcnt(1)
	v_mul_f32_e32 v54, v75, v13
	v_fma_f32 v121, v74, v12, -v54
	v_mul_f32_e32 v120, v74, v13
	s_waitcnt lgkmcnt(0)
	v_mul_f32_e32 v54, v79, v15
	v_fmac_f32_e32 v70, v55, v16
	v_fmac_f32_e32 v120, v75, v12
	v_fma_f32 v75, v78, v14, -v54
	s_waitcnt vmcnt(2)
	v_pk_mul_f32 v[54:55], v[52:53], v[40:41] op_sel_hi:[1,0]
	v_fmac_f32_e32 v109, v63, v44
	v_pk_fma_f32 v[62:63], v[52:53], v[40:41], v[54:55] op_sel:[0,1,1] op_sel_hi:[1,1,0]
	v_pk_fma_f32 v[52:53], v[52:53], v[40:41], v[54:55] op_sel:[0,1,1] op_sel_hi:[1,1,0] neg_lo:[1,0,0] neg_hi:[1,0,0]
	v_mul_f32_e32 v114, v66, v19
	v_mov_b32_e32 v63, v53
	v_pk_mul_f32 v[52:53], v[64:65], v[42:43] op_sel_hi:[1,0]
	v_mov_b32_e32 v54, v43
	v_fmac_f32_e32 v114, v67, v18
	v_pk_fma_f32 v[66:67], v[64:65], v[54:55], v[52:53] op_sel:[0,0,1] op_sel_hi:[1,0,0]
	v_pk_fma_f32 v[52:53], v[64:65], v[54:55], v[52:53] op_sel:[0,0,1] op_sel_hi:[1,0,0] neg_lo:[1,0,0] neg_hi:[1,0,0]
	s_waitcnt vmcnt(1)
	v_mov_b32_e32 v64, v39
	v_mov_b32_e32 v67, v53
	v_pk_mul_f32 v[52:53], v[72:73], v[36:37] op_sel_hi:[1,0]
	v_mul_f32_e32 v74, v78, v15
	v_pk_fma_f32 v[54:55], v[72:73], v[36:37], v[52:53] op_sel:[0,1,1] op_sel_hi:[1,1,0]
	v_pk_fma_f32 v[52:53], v[72:73], v[36:37], v[52:53] op_sel:[0,1,1] op_sel_hi:[1,1,0] neg_lo:[1,0,0] neg_hi:[1,0,0]
	v_fmac_f32_e32 v74, v79, v14
	v_mov_b32_e32 v55, v53
	v_pk_mul_f32 v[52:53], v[76:77], v[38:39] op_sel_hi:[1,0]
	v_mov_b32_e32 v107, v114
	v_pk_fma_f32 v[72:73], v[76:77], v[64:65], v[52:53] op_sel:[0,0,1] op_sel_hi:[1,0,0]
	v_pk_fma_f32 v[52:53], v[76:77], v[64:65], v[52:53] op_sel:[0,0,1] op_sel_hi:[1,0,0] neg_lo:[1,0,0] neg_hi:[1,0,0]
	v_pk_add_f32 v[64:65], v[66:67], v[54:55] neg_lo:[0,1] neg_hi:[0,1]
	v_mov_b32_e32 v73, v53
	v_pk_add_f32 v[52:53], v[62:63], v[72:73] neg_lo:[0,1] neg_hi:[0,1]
	v_pk_add_f32 v[62:63], v[62:63], v[72:73]
	s_waitcnt vmcnt(0)
	v_pk_mul_f32 v[72:73], v[60:61], v[48:49] op_sel_hi:[1,0]
	v_pk_add_f32 v[54:55], v[66:67], v[54:55]
	v_pk_fma_f32 v[78:79], v[60:61], v[48:49], v[72:73] op_sel:[0,0,1] op_sel_hi:[1,1,0] neg_lo:[1,0,0] neg_hi:[1,0,0]
	v_pk_fma_f32 v[60:61], v[60:61], v[48:49], v[72:73] op_sel:[0,1,1] op_sel_hi:[1,1,0]
	v_pk_mul_f32 v[72:73], v[68:69], v[50:51] op_sel_hi:[1,0]
	v_mov_b32_e32 v78, v51
	v_pk_fma_f32 v[122:123], v[68:69], v[50:51], v[72:73] op_sel:[0,0,1] op_sel_hi:[1,1,0] neg_lo:[1,0,0] neg_hi:[1,0,0]
	v_pk_fma_f32 v[68:69], v[68:69], v[78:79], v[72:73] op_sel:[0,0,1] op_sel_hi:[1,0,0]
	v_mov_b32_e32 v61, v79
	v_mov_b32_e32 v69, v123
	v_pk_add_f32 v[72:73], v[60:61], v[68:69]
	v_pk_add_f32 v[60:61], v[68:69], v[60:61] neg_lo:[0,1] neg_hi:[0,1]
	v_mov_b32_e32 v79, v53
	v_mov_b32_e32 v78, v60
	;; [unrolled: 1-line block ×4, first 2 shown]
	v_pk_add_f32 v[68:69], v[60:61], v[64:65]
	v_pk_add_f32 v[78:79], v[78:79], v[122:123] neg_lo:[0,1] neg_hi:[0,1]
	v_mov_b32_e32 v122, v52
	v_mov_b32_e32 v61, v65
	v_pk_add_f32 v[60:61], v[122:123], v[60:61] neg_lo:[0,1] neg_hi:[0,1]
	v_mov_b32_e32 v122, v73
	v_mov_b32_e32 v123, v62
	;; [unrolled: 1-line block ×4, first 2 shown]
	v_pk_add_f32 v[76:77], v[64:65], v[52:53] neg_lo:[0,1] neg_hi:[0,1]
	v_pk_add_f32 v[66:67], v[54:55], v[62:63] neg_lo:[0,1] neg_hi:[0,1]
	v_pk_add_f32 v[64:65], v[68:69], v[52:53]
	v_pk_add_f32 v[52:53], v[54:55], v[62:63]
	v_pk_add_f32 v[122:123], v[122:123], v[124:125] neg_lo:[0,1] neg_hi:[0,1]
	v_mov_b32_e32 v62, v63
	v_mov_b32_e32 v63, v72
	;; [unrolled: 1-line block ×4, first 2 shown]
	v_pk_add_f32 v[54:55], v[62:63], v[124:125] neg_lo:[0,1] neg_hi:[0,1]
	v_pk_add_f32 v[62:63], v[72:73], v[52:53]
	v_pk_mul_f32 v[68:69], v[60:61], s[0:1]
	v_pk_add_f32 v[52:53], v[56:57], v[62:63] op_sel:[0,1] op_sel_hi:[1,0]
	v_pk_mul_f32 v[56:57], v[122:123], s[20:21]
	v_pk_mul_f32 v[122:123], v[54:55], s[22:23]
	;; [unrolled: 1-line block ×3, first 2 shown]
	v_pk_mul_f32 v[72:73], v[66:67], s[26:27] op_sel_hi:[1,0]
	v_mov_b32_e32 v124, v123
	v_mov_b32_e32 v123, v57
	v_pk_fma_f32 v[62:63], v[62:63], s[18:19], v[52:53] op_sel:[1,0,0] op_sel_hi:[0,0,1] neg_lo:[1,0,0] neg_hi:[1,0,0]
	v_pk_fma_f32 v[54:55], v[54:55], s[22:23], v[56:57]
	v_mov_b32_e32 v125, v56
	v_pk_add_f32 v[56:57], v[122:123], v[72:73] op_sel:[0,1] op_sel_hi:[1,0] neg_lo:[1,1] neg_hi:[1,1]
	v_pk_fma_f32 v[60:61], v[60:61], s[0:1], v[78:79]
	v_mov_b32_e32 v72, v78
	v_mov_b32_e32 v73, v69
	;; [unrolled: 1-line block ×3, first 2 shown]
	v_pk_fma_f32 v[66:67], v[66:67], s[26:27], v[124:125] op_sel_hi:[1,0,1] neg_lo:[0,0,1] neg_hi:[0,0,1]
	v_pk_fma_f32 v[72:73], v[76:77], s[24:25], v[72:73] op_sel_hi:[1,0,1] neg_lo:[0,0,1] neg_hi:[0,0,1]
	;; [unrolled: 1-line block ×3, first 2 shown]
	v_pk_add_f32 v[54:55], v[54:55], v[62:63]
	v_pk_add_f32 v[76:77], v[56:57], v[62:63]
	v_pk_fma_f32 v[56:57], v[64:65], s[14:15], v[60:61] op_sel_hi:[1,0,1]
	v_pk_add_f32 v[66:67], v[66:67], v[62:63] op_sel:[1,0] op_sel_hi:[0,1]
	v_pk_fma_f32 v[60:61], v[64:65], s[14:15], v[72:73] op_sel_hi:[1,0,1]
	v_pk_fma_f32 v[68:69], v[64:65], s[14:15], v[68:69] op_sel_hi:[1,0,1]
	v_pk_add_f32 v[72:73], v[54:55], v[56:57]
	v_mov_b32_e32 v111, v120
	v_mov_b32_e32 v108, v71
	;; [unrolled: 1-line block ×3, first 2 shown]
	v_pk_add_f32 v[56:57], v[54:55], v[56:57] neg_lo:[0,1] neg_hi:[0,1]
	v_mov_b32_e32 v54, v72
	v_pk_add_f32 v[122:123], v[66:67], v[60:61]
	v_pk_add_f32 v[62:63], v[66:67], v[60:61] neg_lo:[0,1] neg_hi:[0,1]
	v_pk_add_f32 v[124:125], v[76:77], v[68:69] neg_lo:[0,1] neg_hi:[0,1]
	v_pk_add_f32 v[60:61], v[76:77], v[68:69]
	v_add_f32_e32 v69, v70, v74
	v_add_f32_e32 v72, v115, v121
	v_pk_add_f32 v[76:77], v[70:71], v[74:75] neg_lo:[0,1] neg_hi:[0,1]
	v_pk_add_f32 v[78:79], v[114:115], v[120:121] neg_lo:[0,1] neg_hi:[0,1]
	v_pk_add_f32 v[114:115], v[106:107], v[110:111]
	v_pk_add_f32 v[70:71], v[108:109], v[112:113]
	v_mov_b32_e32 v74, v113
	v_mov_b32_e32 v75, v110
	;; [unrolled: 1-line block ×6, first 2 shown]
	v_pk_add_f32 v[74:75], v[74:75], v[108:109] neg_lo:[0,1] neg_hi:[0,1]
	v_mov_b32_e32 v73, v115
	v_mov_b32_e32 v68, v70
	;; [unrolled: 1-line block ×3, first 2 shown]
	v_add_f32_e32 v61, v115, v69
	v_pk_add_f32 v[108:109], v[72:73], v[68:69] neg_lo:[0,1] neg_hi:[0,1]
	v_mov_b32_e32 v68, v114
	v_mov_b32_e32 v73, v71
	v_mov_b32_e32 v112, v74
	v_mov_b32_e32 v113, v77
	v_mov_b32_e32 v120, v78
	v_mov_b32_e32 v121, v75
	v_add_f32_e32 v106, v72, v70
	v_pk_add_f32 v[68:69], v[68:69], v[72:73] neg_lo:[0,1] neg_hi:[0,1]
	v_pk_add_f32 v[72:73], v[70:71], v[114:115] neg_lo:[0,1] neg_hi:[0,1]
	v_pk_add_f32 v[110:111], v[74:75], v[78:79]
	v_pk_add_f32 v[112:113], v[112:113], v[120:121] neg_lo:[0,1] neg_hi:[0,1]
	v_mov_b32_e32 v120, v76
	v_mov_b32_e32 v75, v79
	;; [unrolled: 1-line block ×4, first 2 shown]
	v_pk_add_f32 v[74:75], v[120:121], v[74:75] neg_lo:[0,1] neg_hi:[0,1]
	v_pk_add_f32 v[70:71], v[106:107], v[114:115]
	v_pk_mul_f32 v[68:69], v[68:69], s[20:21]
	v_pk_mul_f32 v[106:107], v[72:73], s[22:23]
	v_pk_add_f32 v[78:79], v[78:79], v[76:77] neg_lo:[0,1] neg_hi:[0,1]
	v_pk_add_f32 v[76:77], v[110:111], v[76:77]
	v_pk_mul_f32 v[110:111], v[74:75], s[0:1]
	v_pk_mul_f32 v[112:113], v[112:113], s[16:17]
	v_mov_b32_e32 v115, v107
	v_mov_b32_e32 v107, v69
	v_pk_add_f32 v[58:59], v[58:59], v[70:71]
	v_pk_fma_f32 v[72:73], v[72:73], s[22:23], v[68:69]
	v_mov_b32_e32 v114, v68
	v_pk_fma_f32 v[68:69], v[108:109], s[26:27], v[106:107] op_sel_hi:[1,0,1] neg_lo:[1,0,1] neg_hi:[1,0,1]
	v_mov_b32_e32 v106, v112
	v_mov_b32_e32 v107, v111
	;; [unrolled: 1-line block ×3, first 2 shown]
	v_pk_fma_f32 v[70:71], v[70:71], s[18:19], v[58:59] op_sel_hi:[1,0,1] neg_lo:[1,0,0] neg_hi:[1,0,0]
	v_pk_fma_f32 v[114:115], v[108:109], s[26:27], v[114:115] op_sel_hi:[1,0,1] neg_lo:[0,0,1] neg_hi:[0,0,1]
	v_pk_fma_f32 v[74:75], v[74:75], s[0:1], v[112:113]
	v_pk_fma_f32 v[106:107], v[78:79], s[24:25], v[106:107] op_sel_hi:[1,0,1] neg_lo:[0,0,1] neg_hi:[0,0,1]
	v_pk_fma_f32 v[78:79], v[78:79], s[24:25], v[110:111] op_sel_hi:[1,0,1] neg_lo:[1,0,1] neg_hi:[1,0,1]
	v_pk_add_f32 v[108:109], v[72:73], v[70:71]
	v_pk_add_f32 v[72:73], v[114:115], v[70:71]
	;; [unrolled: 1-line block ×3, first 2 shown]
	v_pk_fma_f32 v[110:111], v[76:77], s[14:15], v[74:75] op_sel_hi:[1,0,1]
	v_pk_fma_f32 v[74:75], v[76:77], s[14:15], v[106:107] op_sel_hi:[1,0,1]
	;; [unrolled: 1-line block ×3, first 2 shown]
	v_pk_add_f32 v[106:107], v[108:109], v[110:111] neg_lo:[0,1] neg_hi:[0,1]
	v_pk_add_f32 v[78:79], v[68:69], v[70:71]
	v_pk_add_f32 v[76:77], v[68:69], v[70:71] neg_lo:[0,1] neg_hi:[0,1]
	v_pk_add_f32 v[68:69], v[72:73], v[74:75] neg_lo:[0,1] neg_hi:[0,1]
	v_pk_add_f32 v[74:75], v[72:73], v[74:75]
	v_mov_b32_e32 v72, v68
	v_mov_b32_e32 v73, v75
	;; [unrolled: 1-line block ×3, first 2 shown]
	v_pk_add_f32 v[68:69], v[108:109], v[110:111]
	v_mov_b32_e32 v64, v122
	v_mov_b32_e32 v65, v63
	;; [unrolled: 1-line block ×11, first 2 shown]
	ds_write2_b64 v83, v[52:53], v[58:59] offset1:119
	ds_write2_b64 v103, v[54:55], v[68:69] offset0:110 offset1:229
	ds_write2_b64 v85, v[60:61], v[70:71] offset0:92 offset1:211
	;; [unrolled: 1-line block ×6, first 2 shown]
	s_waitcnt lgkmcnt(0)
	s_barrier
	s_and_saveexec_b64 s[0:1], s[2:3]
	s_cbranch_execz .LBB0_9
; %bb.8:
	v_mov_b32_e32 v81, 0
	v_lshl_add_u64 v[84:85], s[8:9], 0, v[80:81]
	v_add_co_u32_e32 v104, vcc, 0x3000, v84
	ds_read_b64 v[102:103], v83
	s_nop 0
	v_addc_co_u32_e32 v105, vcc, 0, v85, vcc
	global_load_dwordx2 v[104:105], v[104:105], off offset:1040
	s_mov_b64 s[10:11], 0x3410
	v_lshl_add_u64 v[106:107], v[84:85], 0, s[10:11]
	s_movk_i32 s10, 0x4000
	s_waitcnt vmcnt(0) lgkmcnt(0)
	v_mul_f32_e32 v81, v103, v105
	v_mul_f32_e32 v109, v102, v105
	v_fma_f32 v108, v102, v104, -v81
	v_fmac_f32_e32 v109, v103, v104
	ds_write_b64 v83, v[108:109]
	global_load_dwordx2 v[108:109], v[106:107], off offset:784
	ds_read2_b64 v[102:105], v101 offset0:98 offset1:196
	s_waitcnt vmcnt(0) lgkmcnt(0)
	v_mul_f32_e32 v81, v103, v109
	v_mul_f32_e32 v111, v102, v109
	v_fma_f32 v110, v102, v108, -v81
	v_fmac_f32_e32 v111, v103, v108
	global_load_dwordx2 v[102:103], v[106:107], off offset:1568
	s_waitcnt vmcnt(0)
	v_mul_f32_e32 v81, v105, v103
	v_mul_f32_e32 v109, v104, v103
	v_fma_f32 v108, v104, v102, -v81
	v_fmac_f32_e32 v109, v105, v102
	ds_write2_b64 v101, v[110:111], v[108:109] offset0:98 offset1:196
	global_load_dwordx2 v[108:109], v[106:107], off offset:2352
	v_add_u32_e32 v81, 0x800, v101
	ds_read2_b64 v[102:105], v81 offset0:38 offset1:136
	s_waitcnt vmcnt(0) lgkmcnt(0)
	v_mul_f32_e32 v86, v103, v109
	v_mul_f32_e32 v111, v102, v109
	v_fma_f32 v110, v102, v108, -v86
	v_fmac_f32_e32 v111, v103, v108
	global_load_dwordx2 v[102:103], v[106:107], off offset:3136
	s_waitcnt vmcnt(0)
	v_mul_f32_e32 v86, v105, v103
	global_load_dwordx2 v[106:107], v[106:107], off offset:3920
	v_mul_f32_e32 v109, v104, v103
	v_fma_f32 v108, v104, v102, -v86
	v_fmac_f32_e32 v109, v105, v102
	ds_write2_b64 v81, v[110:111], v[108:109] offset0:38 offset1:136
	v_add_u32_e32 v81, 0xc00, v101
	ds_read2_b64 v[102:105], v81 offset0:106 offset1:204
	s_waitcnt vmcnt(0) lgkmcnt(0)
	v_mul_f32_e32 v86, v103, v107
	v_mul_f32_e32 v109, v102, v107
	v_fma_f32 v108, v102, v106, -v86
	v_fmac_f32_e32 v109, v103, v106
	v_add_co_u32_e32 v106, vcc, s10, v84
	s_movk_i32 s10, 0x5000
	s_nop 0
	v_addc_co_u32_e32 v107, vcc, 0, v85, vcc
	global_load_dwordx2 v[102:103], v[106:107], off offset:1648
	s_waitcnt vmcnt(0)
	v_mul_f32_e32 v86, v105, v103
	v_mul_f32_e32 v111, v104, v103
	v_fma_f32 v110, v104, v102, -v86
	v_fmac_f32_e32 v111, v105, v102
	ds_write2_b64 v81, v[108:109], v[110:111] offset0:106 offset1:204
	global_load_dwordx2 v[108:109], v[106:107], off offset:2432
	v_add_u32_e32 v81, 0x1400, v101
	ds_read2_b64 v[102:105], v81 offset0:46 offset1:144
	s_waitcnt vmcnt(0) lgkmcnt(0)
	v_mul_f32_e32 v86, v103, v109
	v_mul_f32_e32 v111, v102, v109
	v_fma_f32 v110, v102, v108, -v86
	v_fmac_f32_e32 v111, v103, v108
	global_load_dwordx2 v[102:103], v[106:107], off offset:3216
	s_waitcnt vmcnt(0)
	v_mul_f32_e32 v86, v105, v103
	global_load_dwordx2 v[106:107], v[106:107], off offset:4000
	v_mul_f32_e32 v109, v104, v103
	v_fma_f32 v108, v104, v102, -v86
	v_fmac_f32_e32 v109, v105, v102
	ds_write2_b64 v81, v[110:111], v[108:109] offset0:46 offset1:144
	v_add_u32_e32 v81, 0x1800, v101
	ds_read2_b64 v[102:105], v81 offset0:114 offset1:212
	s_waitcnt vmcnt(0) lgkmcnt(0)
	v_mul_f32_e32 v86, v103, v107
	v_mul_f32_e32 v109, v102, v107
	v_fma_f32 v108, v102, v106, -v86
	v_fmac_f32_e32 v109, v103, v106
	v_add_co_u32_e32 v106, vcc, s10, v84
	s_movk_i32 s10, 0x6000
	s_nop 0
	v_addc_co_u32_e32 v107, vcc, 0, v85, vcc
	global_load_dwordx2 v[102:103], v[106:107], off offset:688
	v_add_co_u32_e32 v84, vcc, s10, v84
	s_waitcnt vmcnt(0)
	v_mul_f32_e32 v86, v105, v103
	v_mul_f32_e32 v111, v104, v103
	v_fma_f32 v110, v104, v102, -v86
	v_fmac_f32_e32 v111, v105, v102
	ds_write2_b64 v81, v[108:109], v[110:111] offset0:114 offset1:212
	global_load_dwordx2 v[108:109], v[106:107], off offset:1472
	v_add_u32_e32 v81, 0x2000, v101
	ds_read2_b64 v[102:105], v81 offset0:54 offset1:152
	v_addc_co_u32_e32 v85, vcc, 0, v85, vcc
	s_waitcnt vmcnt(0) lgkmcnt(0)
	v_mul_f32_e32 v86, v103, v109
	v_mul_f32_e32 v111, v102, v109
	v_fma_f32 v110, v102, v108, -v86
	v_fmac_f32_e32 v111, v103, v108
	global_load_dwordx2 v[102:103], v[106:107], off offset:2256
	s_waitcnt vmcnt(0)
	v_mul_f32_e32 v86, v105, v103
	v_mul_f32_e32 v109, v104, v103
	v_fma_f32 v108, v104, v102, -v86
	v_fmac_f32_e32 v109, v105, v102
	ds_write2_b64 v81, v[110:111], v[108:109] offset0:54 offset1:152
	global_load_dwordx2 v[108:109], v[106:107], off offset:3040
	v_add_u32_e32 v81, 0x2400, v101
	ds_read2_b64 v[102:105], v81 offset0:122 offset1:220
	s_waitcnt vmcnt(0) lgkmcnt(0)
	v_mul_f32_e32 v86, v103, v109
	v_mul_f32_e32 v111, v102, v109
	v_fma_f32 v110, v102, v108, -v86
	v_fmac_f32_e32 v111, v103, v108
	global_load_dwordx2 v[102:103], v[106:107], off offset:3824
	s_waitcnt vmcnt(0)
	v_mul_f32_e32 v86, v105, v103
	v_mul_f32_e32 v107, v104, v103
	v_fma_f32 v106, v104, v102, -v86
	v_fmac_f32_e32 v107, v105, v102
	ds_write2_b64 v81, v[110:111], v[106:107] offset0:122 offset1:220
	global_load_dwordx2 v[106:107], v[84:85], off offset:512
	v_add_u32_e32 v81, 0x2c00, v101
	global_load_dwordx2 v[84:85], v[84:85], off offset:1296
	ds_read2_b64 v[102:105], v81 offset0:62 offset1:160
	s_waitcnt vmcnt(1) lgkmcnt(0)
	v_mul_f32_e32 v86, v103, v107
	v_mul_f32_e32 v109, v102, v107
	v_fma_f32 v108, v102, v106, -v86
	v_fmac_f32_e32 v109, v103, v106
	s_waitcnt vmcnt(0)
	v_mul_f32_e32 v86, v105, v85
	v_mul_f32_e32 v103, v104, v85
	v_fma_f32 v102, v104, v84, -v86
	v_fmac_f32_e32 v103, v105, v84
	ds_write2_b64 v81, v[108:109], v[102:103] offset0:62 offset1:160
.LBB0_9:
	s_or_b64 exec, exec, s[0:1]
	s_waitcnt lgkmcnt(0)
	s_barrier
	s_and_saveexec_b64 s[0:1], s[2:3]
	s_cbranch_execz .LBB0_11
; %bb.10:
	v_add_u32_e32 v8, 0x400, v83
	ds_read2_b64 v[60:63], v8 offset0:68 offset1:166
	v_add_u32_e32 v8, 0x800, v83
	ds_read2_b64 v[64:67], v8 offset0:136 offset1:234
	;; [unrolled: 2-line block ×6, first 2 shown]
	v_add_u32_e32 v8, 0x2800, v83
	ds_read2_b64 v[52:55], v83 offset1:98
	ds_read2_b64 v[8:11], v8 offset0:92 offset1:190
	ds_read_b64 v[148:149], v83 offset:12544
.LBB0_11:
	s_or_b64 exec, exec, s[0:1]
	v_mov_b32_e32 v114, v98
	v_mov_b32_e32 v115, v98
	;; [unrolled: 1-line block ×21, first 2 shown]
	s_waitcnt lgkmcnt(0)
	s_barrier
	s_and_saveexec_b64 s[0:1], s[2:3]
	s_cbranch_execz .LBB0_13
; %bb.12:
	v_pk_add_f32 v[84:85], v[54:55], v[52:53]
	v_pk_add_f32 v[210:211], v[54:55], v[148:149] neg_lo:[0,1] neg_hi:[0,1]
	v_pk_add_f32 v[84:85], v[60:61], v[84:85]
	s_mov_b32 s28, 0xbeb8f4ab
	v_pk_add_f32 v[84:85], v[62:63], v[84:85]
	v_pk_add_f32 v[206:207], v[148:149], v[54:55]
	;; [unrolled: 1-line block ×3, first 2 shown]
	v_pk_add_f32 v[208:209], v[60:61], v[10:11] neg_lo:[0,1] neg_hi:[0,1]
	v_pk_add_f32 v[84:85], v[66:67], v[84:85]
	v_pk_add_f32 v[202:203], v[62:63], v[8:9] neg_lo:[0,1] neg_hi:[0,1]
	v_pk_add_f32 v[84:85], v[56:57], v[84:85]
	v_pk_add_f32 v[200:201], v[8:9], v[62:63]
	;; [unrolled: 1-line block ×3, first 2 shown]
	s_mov_b32 s18, 0x3f6eb680
	v_pk_add_f32 v[84:85], v[68:69], v[84:85]
	s_mov_b32 s44, 0xbf2c7751
	v_pk_add_f32 v[84:85], v[70:71], v[84:85]
	v_pk_add_f32 v[204:205], v[10:11], v[60:61]
	;; [unrolled: 1-line block ×3, first 2 shown]
	s_mov_b32 s16, 0x3f3d2fb0
	v_pk_add_f32 v[84:85], v[74:75], v[84:85]
	v_pk_mul_f32 v[54:55], v[208:209], s[44:45] op_sel_hi:[1,0]
	v_pk_add_f32 v[84:85], v[76:77], v[84:85]
	v_pk_add_f32 v[170:171], v[58:59], v[72:73] neg_lo:[0,1] neg_hi:[0,1]
	v_pk_add_f32 v[84:85], v[78:79], v[84:85]
	v_pk_add_f32 v[168:169], v[72:73], v[58:59]
	;; [unrolled: 1-line block ×3, first 2 shown]
	v_pk_mul_f32 v[8:9], v[210:211], s[28:29] op_sel_hi:[1,0]
	v_pk_add_f32 v[84:85], v[10:11], v[84:85]
	v_pk_fma_f32 v[10:11], v[206:207], s[18:19], v[8:9] op_sel:[0,0,1] op_sel_hi:[1,0,0]
	v_pk_fma_f32 v[62:63], v[206:207], s[18:19], v[8:9] op_sel:[0,0,1] op_sel_hi:[1,0,0] neg_lo:[0,0,1] neg_hi:[0,0,1]
	v_mov_b32_e32 v8, v10
	v_accvgpr_write_b32 a9, v11
	v_mov_b32_e32 v9, v63
	v_pk_fma_f32 v[10:11], v[204:205], s[16:17], v[54:55] op_sel:[0,0,1] op_sel_hi:[1,0,0]
	v_pk_fma_f32 v[58:59], v[204:205], s[16:17], v[54:55] op_sel:[0,0,1] op_sel_hi:[1,0,0] neg_lo:[0,0,1] neg_hi:[0,0,1]
	v_pk_add_f32 v[8:9], v[52:53], v[8:9]
	v_mov_b32_e32 v54, v10
	v_mov_b32_e32 v55, v59
	s_mov_b32 s50, 0xbf65296c
	v_pk_add_f32 v[8:9], v[54:55], v[8:9]
	s_mov_b32 s14, 0x3ee437d1
	v_pk_mul_f32 v[54:55], v[202:203], s[50:51] op_sel_hi:[1,0]
	v_accvgpr_write_b32 a11, v11
	v_pk_fma_f32 v[10:11], v[200:201], s[14:15], v[54:55] op_sel:[0,0,1] op_sel_hi:[1,0,0]
	v_pk_fma_f32 v[60:61], v[200:201], s[14:15], v[54:55] op_sel:[0,0,1] op_sel_hi:[1,0,0] neg_lo:[0,0,1] neg_hi:[0,0,1]
	v_pk_add_f32 v[198:199], v[64:65], v[78:79] neg_lo:[0,1] neg_hi:[0,1]
	v_mov_b32_e32 v54, v10
	v_mov_b32_e32 v55, v61
	s_mov_b32 s40, 0xbf7ee86f
	v_pk_add_f32 v[192:193], v[78:79], v[64:65]
	v_pk_add_f32 v[8:9], v[54:55], v[8:9]
	s_mov_b32 s10, 0x3dbcf732
	v_pk_mul_f32 v[54:55], v[198:199], s[40:41] op_sel_hi:[1,0]
	v_accvgpr_write_b32 a13, v11
	v_pk_fma_f32 v[10:11], v[192:193], s[10:11], v[54:55] op_sel:[0,0,1] op_sel_hi:[1,0,0]
	v_pk_fma_f32 v[64:65], v[192:193], s[10:11], v[54:55] op_sel:[0,0,1] op_sel_hi:[1,0,0] neg_lo:[0,0,1] neg_hi:[0,0,1]
	v_pk_add_f32 v[186:187], v[66:67], v[76:77] neg_lo:[0,1] neg_hi:[0,1]
	v_mov_b32_e32 v54, v10
	v_mov_b32_e32 v55, v65
	s_mov_b32 s22, 0xbf763a35
	v_pk_add_f32 v[184:185], v[76:77], v[66:67]
	v_pk_add_f32 v[8:9], v[54:55], v[8:9]
	s_mov_b32 s20, 0xbe8c1d8e
	v_pk_mul_f32 v[54:55], v[186:187], s[22:23] op_sel_hi:[1,0]
	v_pk_add_f32 v[162:163], v[68:69], v[70:71] neg_lo:[0,1] neg_hi:[0,1]
	v_pk_add_f32 v[160:161], v[70:71], v[68:69]
	v_accvgpr_write_b32 a15, v11
	v_pk_fma_f32 v[10:11], v[184:185], s[20:21], v[54:55] op_sel:[0,0,1] op_sel_hi:[1,0,0]
	v_pk_fma_f32 v[68:69], v[184:185], s[20:21], v[54:55] op_sel:[0,0,1] op_sel_hi:[1,0,0] neg_lo:[0,0,1] neg_hi:[0,0,1]
	v_pk_add_f32 v[178:179], v[56:57], v[74:75] neg_lo:[0,1] neg_hi:[0,1]
	v_mov_b32_e32 v54, v10
	v_mov_b32_e32 v55, v69
	s_mov_b32 s26, 0xbf4c4adb
	v_pk_add_f32 v[176:177], v[74:75], v[56:57]
	v_pk_add_f32 v[8:9], v[54:55], v[8:9]
	s_mov_b32 s24, 0xbf1a4643
	v_pk_mul_f32 v[54:55], v[178:179], s[26:27] op_sel_hi:[1,0]
	v_accvgpr_write_b32 a17, v11
	v_pk_fma_f32 v[10:11], v[176:177], s[24:25], v[54:55] op_sel:[0,0,1] op_sel_hi:[1,0,0]
	v_pk_fma_f32 v[72:73], v[176:177], s[24:25], v[54:55] op_sel:[0,0,1] op_sel_hi:[1,0,0] neg_lo:[0,0,1] neg_hi:[0,0,1]
	v_mov_b32_e32 v54, v10
	v_mov_b32_e32 v55, v73
	s_mov_b32 s34, 0xbf06c442
	v_pk_add_f32 v[8:9], v[54:55], v[8:9]
	s_mov_b32 s30, 0xbf59a7d5
	v_pk_mul_f32 v[54:55], v[170:171], s[34:35] op_sel_hi:[1,0]
	v_accvgpr_write_b32 a19, v11
	v_pk_fma_f32 v[10:11], v[168:169], s[30:31], v[54:55] op_sel:[0,0,1] op_sel_hi:[1,0,0]
	v_pk_fma_f32 v[76:77], v[168:169], s[30:31], v[54:55] op_sel:[0,0,1] op_sel_hi:[1,0,0] neg_lo:[0,0,1] neg_hi:[0,0,1]
	v_mov_b32_e32 v54, v10
	v_mov_b32_e32 v55, v77
	s_mov_b32 s38, 0xbe3c28d5
	v_pk_add_f32 v[8:9], v[54:55], v[8:9]
	s_mov_b32 s36, 0xbf7ba420
	v_pk_mul_f32 v[54:55], v[162:163], s[38:39] op_sel_hi:[1,0]
	v_accvgpr_write_b32 a21, v11
	v_pk_fma_f32 v[10:11], v[160:161], s[36:37], v[54:55] op_sel:[0,0,1] op_sel_hi:[1,0,0]
	v_pk_fma_f32 v[56:57], v[160:161], s[36:37], v[54:55] op_sel:[0,0,1] op_sel_hi:[1,0,0] neg_lo:[0,0,1] neg_hi:[0,0,1]
	v_mov_b32_e32 v54, v10
	v_mov_b32_e32 v55, v57
	v_lshlrev_b32_e32 v81, 3, v118
	v_pk_add_f32 v[84:85], v[148:149], v[84:85]
	v_pk_add_f32 v[8:9], v[54:55], v[8:9]
	ds_write2_b64 v81, v[84:85], v[8:9] offset1:1
	v_pk_mul_f32 v[8:9], v[210:211], s[44:45] op_sel_hi:[1,0]
	v_accvgpr_write_b32 a23, v11
	v_pk_fma_f32 v[10:11], v[206:207], s[16:17], v[8:9] op_sel:[0,0,1] op_sel_hi:[1,0,0]
	v_mov_b32_e32 v61, v119
	v_pk_fma_f32 v[118:119], v[206:207], s[16:17], v[8:9] op_sel:[0,0,1] op_sel_hi:[1,0,0] neg_lo:[0,0,1] neg_hi:[0,0,1]
	v_pk_mul_f32 v[54:55], v[208:209], s[40:41] op_sel_hi:[1,0]
	v_mov_b32_e32 v8, v10
	v_accvgpr_write_b32 a25, v11
	v_mov_b32_e32 v9, v119
	v_pk_fma_f32 v[10:11], v[204:205], s[10:11], v[54:55] op_sel:[0,0,1] op_sel_hi:[1,0,0]
	v_pk_fma_f32 v[122:123], v[204:205], s[10:11], v[54:55] op_sel:[0,0,1] op_sel_hi:[1,0,0] neg_lo:[0,0,1] neg_hi:[0,0,1]
	v_pk_add_f32 v[8:9], v[52:53], v[8:9]
	v_mov_b32_e32 v54, v10
	v_mov_b32_e32 v55, v123
	v_pk_add_f32 v[8:9], v[54:55], v[8:9]
	v_pk_mul_f32 v[54:55], v[202:203], s[26:27] op_sel_hi:[1,0]
	v_accvgpr_write_b32 a6, v126
	v_accvgpr_write_b32 a27, v11
	v_pk_fma_f32 v[10:11], v[200:201], s[24:25], v[54:55] op_sel:[0,0,1] op_sel_hi:[1,0,0]
	v_accvgpr_write_b32 a7, v127
	v_pk_fma_f32 v[126:127], v[200:201], s[24:25], v[54:55] op_sel:[0,0,1] op_sel_hi:[1,0,0] neg_lo:[0,0,1] neg_hi:[0,0,1]
	v_mov_b32_e32 v54, v10
	v_mov_b32_e32 v55, v127
	v_pk_add_f32 v[8:9], v[54:55], v[8:9]
	v_pk_mul_f32 v[54:55], v[198:199], s[38:39] op_sel_hi:[1,0]
	v_accvgpr_write_b32 a29, v11
	v_pk_fma_f32 v[10:11], v[192:193], s[36:37], v[54:55] op_sel:[0,0,1] op_sel_hi:[1,0,0]
	v_mov_b32_e32 v65, v130
	v_mov_b32_e32 v69, v131
	v_pk_fma_f32 v[130:131], v[192:193], s[36:37], v[54:55] op_sel:[0,0,1] op_sel_hi:[1,0,0] neg_lo:[0,0,1] neg_hi:[0,0,1]
	v_mov_b32_e32 v54, v10
	v_mov_b32_e32 v55, v131
	s_mov_b32 s56, 0x3f06c442
	v_pk_add_f32 v[8:9], v[54:55], v[8:9]
	v_pk_mul_f32 v[54:55], v[186:187], s[56:57] op_sel_hi:[1,0]
	v_accvgpr_write_b32 a31, v11
	v_pk_fma_f32 v[10:11], v[184:185], s[30:31], v[54:55] op_sel:[0,0,1] op_sel_hi:[1,0,0]
	v_pk_fma_f32 v[134:135], v[184:185], s[30:31], v[54:55] op_sel:[0,0,1] op_sel_hi:[1,0,0] neg_lo:[0,0,1] neg_hi:[0,0,1]
	v_mov_b32_e32 v54, v10
	v_mov_b32_e32 v55, v135
	s_mov_b32 s52, 0x3f763a35
	v_pk_add_f32 v[8:9], v[54:55], v[8:9]
	v_pk_mul_f32 v[54:55], v[178:179], s[52:53] op_sel_hi:[1,0]
	v_accvgpr_write_b32 a33, v11
	v_pk_fma_f32 v[10:11], v[176:177], s[20:21], v[54:55] op_sel:[0,0,1] op_sel_hi:[1,0,0]
	;; [unrolled: 8-line block ×4, first 2 shown]
	v_pk_fma_f32 v[146:147], v[160:161], s[18:19], v[54:55] op_sel:[0,0,1] op_sel_hi:[1,0,0] neg_lo:[0,0,1] neg_hi:[0,0,1]
	v_mov_b32_e32 v54, v10
	v_mov_b32_e32 v55, v147
	v_pk_add_f32 v[8:9], v[54:55], v[8:9]
	v_pk_mul_f32 v[54:55], v[210:211], s[50:51] op_sel_hi:[1,0]
	v_accvgpr_write_b32 a39, v11
	v_pk_fma_f32 v[10:11], v[206:207], s[14:15], v[54:55] op_sel:[0,0,1] op_sel_hi:[1,0,0]
	v_pk_fma_f32 v[150:151], v[206:207], s[14:15], v[54:55] op_sel:[0,0,1] op_sel_hi:[1,0,0] neg_lo:[0,0,1] neg_hi:[0,0,1]
	v_pk_mul_f32 v[84:85], v[208:209], s[26:27] op_sel_hi:[1,0]
	v_mov_b32_e32 v54, v10
	v_mov_b32_e32 v119, v11
	v_mov_b32_e32 v55, v151
	v_pk_fma_f32 v[10:11], v[204:205], s[24:25], v[84:85] op_sel:[0,0,1] op_sel_hi:[1,0,0]
	v_pk_fma_f32 v[154:155], v[204:205], s[24:25], v[84:85] op_sel:[0,0,1] op_sel_hi:[1,0,0] neg_lo:[0,0,1] neg_hi:[0,0,1]
	v_pk_add_f32 v[54:55], v[52:53], v[54:55]
	v_mov_b32_e32 v84, v10
	v_mov_b32_e32 v85, v155
	s_mov_b32 s48, 0x3e3c28d5
	v_pk_add_f32 v[54:55], v[84:85], v[54:55]
	v_pk_mul_f32 v[84:85], v[202:203], s[48:49] op_sel_hi:[1,0]
	v_mov_b32_e32 v123, v11
	v_pk_fma_f32 v[10:11], v[200:201], s[36:37], v[84:85] op_sel:[0,0,1] op_sel_hi:[1,0,0]
	v_pk_fma_f32 v[158:159], v[200:201], s[36:37], v[84:85] op_sel:[0,0,1] op_sel_hi:[1,0,0] neg_lo:[0,0,1] neg_hi:[0,0,1]
	v_mov_b32_e32 v84, v10
	v_mov_b32_e32 v85, v159
	v_pk_add_f32 v[54:55], v[84:85], v[54:55]
	v_pk_mul_f32 v[84:85], v[198:199], s[52:53] op_sel_hi:[1,0]
	v_mov_b32_e32 v127, v11
	v_pk_fma_f32 v[10:11], v[192:193], s[20:21], v[84:85] op_sel:[0,0,1] op_sel_hi:[1,0,0]
	v_pk_fma_f32 v[166:167], v[192:193], s[20:21], v[84:85] op_sel:[0,0,1] op_sel_hi:[1,0,0] neg_lo:[0,0,1] neg_hi:[0,0,1]
	v_mov_b32_e32 v84, v10
	v_mov_b32_e32 v85, v167
	s_mov_b32 s48, 0x3f2c7751
	v_pk_add_f32 v[54:55], v[84:85], v[54:55]
	v_pk_mul_f32 v[84:85], v[186:187], s[48:49] op_sel_hi:[1,0]
	v_mov_b32_e32 v131, v11
	v_pk_fma_f32 v[10:11], v[184:185], s[16:17], v[84:85] op_sel:[0,0,1] op_sel_hi:[1,0,0]
	v_pk_fma_f32 v[174:175], v[184:185], s[16:17], v[84:85] op_sel:[0,0,1] op_sel_hi:[1,0,0] neg_lo:[0,0,1] neg_hi:[0,0,1]
	v_mov_b32_e32 v84, v10
	v_mov_b32_e32 v85, v175
	v_pk_add_f32 v[54:55], v[84:85], v[54:55]
	v_pk_mul_f32 v[84:85], v[178:179], s[28:29] op_sel_hi:[1,0]
	v_mov_b32_e32 v135, v11
	v_pk_fma_f32 v[10:11], v[176:177], s[18:19], v[84:85] op_sel:[0,0,1] op_sel_hi:[1,0,0]
	v_pk_fma_f32 v[182:183], v[176:177], s[18:19], v[84:85] op_sel:[0,0,1] op_sel_hi:[1,0,0] neg_lo:[0,0,1] neg_hi:[0,0,1]
	v_mov_b32_e32 v84, v10
	v_mov_b32_e32 v85, v183
	;; [unrolled: 7-line block ×4, first 2 shown]
	v_pk_add_f32 v[54:55], v[84:85], v[54:55]
	ds_write2_b64 v81, v[8:9], v[54:55] offset0:2 offset1:3
	v_pk_mul_f32 v[8:9], v[210:211], s[40:41] op_sel_hi:[1,0]
	v_mov_b32_e32 v147, v11
	v_pk_fma_f32 v[10:11], v[206:207], s[10:11], v[8:9] op_sel:[0,0,1] op_sel_hi:[1,0,0]
	v_pk_fma_f32 v[214:215], v[206:207], s[10:11], v[8:9] op_sel:[0,0,1] op_sel_hi:[1,0,0] neg_lo:[0,0,1] neg_hi:[0,0,1]
	v_pk_mul_f32 v[54:55], v[208:209], s[38:39] op_sel_hi:[1,0]
	v_mov_b32_e32 v8, v10
	v_mov_b32_e32 v151, v11
	;; [unrolled: 1-line block ×3, first 2 shown]
	v_pk_fma_f32 v[10:11], v[204:205], s[36:37], v[54:55] op_sel:[0,0,1] op_sel_hi:[1,0,0]
	v_pk_fma_f32 v[218:219], v[204:205], s[36:37], v[54:55] op_sel:[0,0,1] op_sel_hi:[1,0,0] neg_lo:[0,0,1] neg_hi:[0,0,1]
	v_pk_add_f32 v[8:9], v[52:53], v[8:9]
	v_mov_b32_e32 v54, v10
	v_mov_b32_e32 v55, v219
	v_pk_add_f32 v[8:9], v[54:55], v[8:9]
	v_pk_mul_f32 v[54:55], v[202:203], s[52:53] op_sel_hi:[1,0]
	v_mov_b32_e32 v155, v11
	v_pk_fma_f32 v[10:11], v[200:201], s[20:21], v[54:55] op_sel:[0,0,1] op_sel_hi:[1,0,0]
	v_pk_fma_f32 v[222:223], v[200:201], s[20:21], v[54:55] op_sel:[0,0,1] op_sel_hi:[1,0,0] neg_lo:[0,0,1] neg_hi:[0,0,1]
	v_mov_b32_e32 v54, v10
	v_mov_b32_e32 v55, v223
	v_pk_add_f32 v[8:9], v[54:55], v[8:9]
	v_pk_mul_f32 v[54:55], v[198:199], s[46:47] op_sel_hi:[1,0]
	v_mov_b32_e32 v159, v11
	v_pk_fma_f32 v[10:11], v[192:193], s[18:19], v[54:55] op_sel:[0,0,1] op_sel_hi:[1,0,0]
	v_pk_fma_f32 v[226:227], v[192:193], s[18:19], v[54:55] op_sel:[0,0,1] op_sel_hi:[1,0,0] neg_lo:[0,0,1] neg_hi:[0,0,1]
	;; [unrolled: 7-line block ×4, first 2 shown]
	v_mov_b32_e32 v54, v10
	v_mov_b32_e32 v55, v235
	s_mov_b32 s54, 0x3f4c4adb
	v_pk_add_f32 v[8:9], v[54:55], v[8:9]
	v_pk_mul_f32 v[54:55], v[170:171], s[54:55] op_sel_hi:[1,0]
	v_mov_b32_e32 v183, v11
	v_pk_fma_f32 v[10:11], v[168:169], s[24:25], v[54:55] op_sel:[0,0,1] op_sel_hi:[1,0,0]
	v_pk_fma_f32 v[238:239], v[168:169], s[24:25], v[54:55] op_sel:[0,0,1] op_sel_hi:[1,0,0] neg_lo:[0,0,1] neg_hi:[0,0,1]
	v_mov_b32_e32 v54, v10
	v_mov_b32_e32 v55, v239
	v_pk_add_f32 v[8:9], v[54:55], v[8:9]
	v_pk_mul_f32 v[54:55], v[162:163], s[48:49] op_sel_hi:[1,0]
	v_mov_b32_e32 v191, v11
	v_pk_fma_f32 v[10:11], v[160:161], s[16:17], v[54:55] op_sel:[0,0,1] op_sel_hi:[1,0,0]
	v_pk_fma_f32 v[242:243], v[160:161], s[16:17], v[54:55] op_sel:[0,0,1] op_sel_hi:[1,0,0] neg_lo:[0,0,1] neg_hi:[0,0,1]
	v_mov_b32_e32 v54, v10
	v_mov_b32_e32 v55, v243
	;; [unrolled: 1-line block ×4, first 2 shown]
	v_pk_add_f32 v[116:117], v[54:55], v[8:9]
	v_pk_mul_f32 v[8:9], v[210:211], s[22:23] op_sel_hi:[1,0]
	v_mov_b32_e32 v197, v11
	v_pk_fma_f32 v[10:11], v[206:207], s[20:21], v[8:9] op_sel:[0,0,1] op_sel_hi:[1,0,0]
	v_pk_fma_f32 v[244:245], v[206:207], s[20:21], v[8:9] op_sel:[0,0,1] op_sel_hi:[1,0,0] neg_lo:[0,0,1] neg_hi:[0,0,1]
	v_pk_mul_f32 v[54:55], v[208:209], s[56:57] op_sel_hi:[1,0]
	v_mov_b32_e32 v8, v10
	v_mov_b32_e32 v215, v11
	v_mov_b32_e32 v9, v245
	v_pk_fma_f32 v[10:11], v[204:205], s[30:31], v[54:55] op_sel:[0,0,1] op_sel_hi:[1,0,0]
	v_pk_fma_f32 v[248:249], v[204:205], s[30:31], v[54:55] op_sel:[0,0,1] op_sel_hi:[1,0,0] neg_lo:[0,0,1] neg_hi:[0,0,1]
	v_pk_add_f32 v[8:9], v[52:53], v[8:9]
	v_mov_b32_e32 v54, v10
	v_mov_b32_e32 v55, v249
	v_pk_add_f32 v[8:9], v[54:55], v[8:9]
	v_pk_mul_f32 v[54:55], v[202:203], s[48:49] op_sel_hi:[1,0]
	v_mov_b32_e32 v219, v11
	v_pk_fma_f32 v[10:11], v[200:201], s[16:17], v[54:55] op_sel:[0,0,1] op_sel_hi:[1,0,0]
	v_pk_fma_f32 v[254:255], v[200:201], s[16:17], v[54:55] op_sel:[0,0,1] op_sel_hi:[1,0,0] neg_lo:[0,0,1] neg_hi:[0,0,1]
	v_mov_b32_e32 v54, v10
	v_mov_b32_e32 v55, v255
	v_pk_add_f32 v[84:85], v[54:55], v[8:9]
	v_pk_mul_f32 v[8:9], v[198:199], s[50:51] op_sel_hi:[1,0]
	v_mov_b32_e32 v223, v11
	v_pk_fma_f32 v[120:121], v[192:193], s[14:15], v[8:9] op_sel:[0,0,1] op_sel_hi:[1,0,0]
	v_pk_fma_f32 v[8:9], v[192:193], s[14:15], v[8:9] op_sel:[0,0,1] op_sel_hi:[1,0,0] neg_lo:[0,0,1] neg_hi:[0,0,1]
	;; [unrolled: 7-line block ×3, first 2 shown]
	v_mov_b32_e32 v128, v10
	v_mov_b32_e32 v63, v129
	;; [unrolled: 1-line block ×3, first 2 shown]
	s_mov_b32 s50, 0x3f7ee86f
	v_mov_b32_e32 v73, v132
	v_mov_b32_e32 v77, v133
	v_pk_add_f32 v[132:133], v[128:129], v[124:125]
	v_pk_mul_f32 v[124:125], v[178:179], s[50:51] op_sel_hi:[1,0]
	v_pk_mul_f32 v[164:165], v[208:209], s[52:53] op_sel_hi:[1,0]
	v_pk_fma_f32 v[136:137], v[176:177], s[10:11], v[124:125] op_sel:[0,0,1] op_sel_hi:[1,0,0]
	v_pk_fma_f32 v[124:125], v[176:177], s[10:11], v[124:125] op_sel:[0,0,1] op_sel_hi:[1,0,0] neg_lo:[0,0,1] neg_hi:[0,0,1]
	v_mov_b32_e32 v235, v137
	v_mov_b32_e32 v137, v125
	v_pk_add_f32 v[140:141], v[136:137], v[132:133]
	v_pk_mul_f32 v[132:133], v[170:171], s[28:29] op_sel_hi:[1,0]
	v_pk_fma_f32 v[136:137], v[204:205], s[20:21], v[164:165] op_sel:[0,0,1] op_sel_hi:[1,0,0]
	v_pk_fma_f32 v[144:145], v[168:169], s[18:19], v[132:133] op_sel:[0,0,1] op_sel_hi:[1,0,0]
	v_pk_fma_f32 v[132:133], v[168:169], s[18:19], v[132:133] op_sel:[0,0,1] op_sel_hi:[1,0,0] neg_lo:[0,0,1] neg_hi:[0,0,1]
	v_mov_b32_e32 v239, v145
	v_mov_b32_e32 v145, v133
	v_pk_add_f32 v[152:153], v[144:145], v[140:141]
	v_pk_mul_f32 v[140:141], v[162:163], s[26:27] op_sel_hi:[1,0]
	v_pk_fma_f32 v[164:165], v[204:205], s[20:21], v[164:165] op_sel:[0,0,1] op_sel_hi:[1,0,0] neg_lo:[0,0,1] neg_hi:[0,0,1]
	v_pk_fma_f32 v[144:145], v[160:161], s[24:25], v[140:141] op_sel:[0,0,1] op_sel_hi:[1,0,0]
	v_pk_fma_f32 v[140:141], v[160:161], s[24:25], v[140:141] op_sel:[0,0,1] op_sel_hi:[1,0,0] neg_lo:[0,0,1] neg_hi:[0,0,1]
	v_mov_b32_e32 v243, v145
	v_mov_b32_e32 v145, v141
	v_pk_add_f32 v[144:145], v[144:145], v[152:153]
	ds_write2_b64 v81, v[116:117], v[144:145] offset0:4 offset1:5
	v_pk_mul_f32 v[116:117], v[210:211], s[26:27] op_sel_hi:[1,0]
	v_mov_b32_e32 v172, v136
	v_pk_fma_f32 v[144:145], v[206:207], s[24:25], v[116:117] op_sel:[0,0,1] op_sel_hi:[1,0,0]
	v_pk_fma_f32 v[116:117], v[206:207], s[24:25], v[116:117] op_sel:[0,0,1] op_sel_hi:[1,0,0] neg_lo:[0,0,1] neg_hi:[0,0,1]
	v_mov_b32_e32 v152, v144
	v_mov_b32_e32 v153, v117
	v_pk_add_f32 v[152:153], v[52:53], v[152:153]
	v_mov_b32_e32 v173, v165
	v_pk_add_f32 v[152:153], v[172:173], v[152:153]
	v_pk_mul_f32 v[172:173], v[202:203], s[28:29] op_sel_hi:[1,0]
	v_pk_mul_f32 v[86:87], v[208:209], s[42:43] op_sel_hi:[1,0]
	v_pk_fma_f32 v[128:129], v[200:201], s[18:19], v[172:173] op_sel:[0,0,1] op_sel_hi:[1,0,0]
	v_pk_fma_f32 v[172:173], v[200:201], s[18:19], v[172:173] op_sel:[0,0,1] op_sel_hi:[1,0,0] neg_lo:[0,0,1] neg_hi:[0,0,1]
	v_mov_b32_e32 v188, v128
	v_mov_b32_e32 v189, v173
	v_pk_add_f32 v[152:153], v[188:189], v[152:153]
	v_pk_mul_f32 v[188:189], v[198:199], s[34:35] op_sel_hi:[1,0]
	v_mov_b32_e32 v231, v11
	v_pk_fma_f32 v[120:121], v[192:193], s[30:31], v[188:189] op_sel:[0,0,1] op_sel_hi:[1,0,0]
	v_pk_fma_f32 v[188:189], v[192:193], s[30:31], v[188:189] op_sel:[0,0,1] op_sel_hi:[1,0,0] neg_lo:[0,0,1] neg_hi:[0,0,1]
	v_mov_b32_e32 v212, v120
	v_mov_b32_e32 v213, v189
	v_pk_add_f32 v[152:153], v[212:213], v[152:153]
	v_pk_mul_f32 v[212:213], v[186:187], s[50:51] op_sel_hi:[1,0]
	v_pk_fma_f32 v[250:251], v[204:205], s[14:15], v[86:87] op_sel:[0,0,1] op_sel_hi:[1,0,0]
	v_pk_fma_f32 v[78:79], v[184:185], s[10:11], v[212:213] op_sel:[0,0,1] op_sel_hi:[1,0,0]
	v_pk_fma_f32 v[212:213], v[184:185], s[10:11], v[212:213] op_sel:[0,0,1] op_sel_hi:[1,0,0] neg_lo:[0,0,1] neg_hi:[0,0,1]
	v_mov_b32_e32 v220, v78
	v_mov_b32_e32 v221, v213
	v_pk_add_f32 v[152:153], v[220:221], v[152:153]
	v_pk_mul_f32 v[220:221], v[178:179], s[44:45] op_sel_hi:[1,0]
	v_pk_fma_f32 v[86:87], v[204:205], s[14:15], v[86:87] op_sel:[0,0,1] op_sel_hi:[1,0,0] neg_lo:[0,0,1] neg_hi:[0,0,1]
	v_pk_fma_f32 v[74:75], v[176:177], s[16:17], v[220:221] op_sel:[0,0,1] op_sel_hi:[1,0,0]
	v_pk_fma_f32 v[220:221], v[176:177], s[16:17], v[220:221] op_sel:[0,0,1] op_sel_hi:[1,0,0] neg_lo:[0,0,1] neg_hi:[0,0,1]
	v_mov_b32_e32 v148, v74
	v_mov_b32_e32 v149, v221
	v_pk_add_f32 v[148:149], v[148:149], v[152:153]
	v_pk_mul_f32 v[152:153], v[170:171], s[38:39] op_sel_hi:[1,0]
	v_mov_b32_e32 v246, v250
	v_pk_fma_f32 v[70:71], v[168:169], s[36:37], v[152:153] op_sel:[0,0,1] op_sel_hi:[1,0,0]
	v_pk_fma_f32 v[152:153], v[168:169], s[36:37], v[152:153] op_sel:[0,0,1] op_sel_hi:[1,0,0] neg_lo:[0,0,1] neg_hi:[0,0,1]
	v_mov_b32_e32 v232, v70
	v_mov_b32_e32 v233, v153
	v_pk_add_f32 v[148:149], v[232:233], v[148:149]
	v_pk_mul_f32 v[232:233], v[162:163], s[42:43] op_sel_hi:[1,0]
	v_mov_b32_e32 v247, v87
	v_pk_fma_f32 v[66:67], v[160:161], s[14:15], v[232:233] op_sel:[0,0,1] op_sel_hi:[1,0,0]
	v_pk_fma_f32 v[232:233], v[160:161], s[14:15], v[232:233] op_sel:[0,0,1] op_sel_hi:[1,0,0] neg_lo:[0,0,1] neg_hi:[0,0,1]
	v_mov_b32_e32 v240, v66
	v_mov_b32_e32 v241, v233
	v_pk_add_f32 v[148:149], v[240:241], v[148:149]
	v_pk_mul_f32 v[240:241], v[210:211], s[34:35] op_sel_hi:[1,0]
	v_accvgpr_write_b32 a0, v88
	v_pk_fma_f32 v[54:55], v[206:207], s[30:31], v[240:241] op_sel:[0,0,1] op_sel_hi:[1,0,0]
	v_pk_fma_f32 v[240:241], v[206:207], s[30:31], v[240:241] op_sel:[0,0,1] op_sel_hi:[1,0,0] neg_lo:[0,0,1] neg_hi:[0,0,1]
	v_mov_b32_e32 v10, v54
	v_mov_b32_e32 v11, v241
	v_pk_add_f32 v[10:11], v[52:53], v[10:11]
	v_accvgpr_write_b32 a1, v89
	v_pk_add_f32 v[10:11], v[246:247], v[10:11]
	v_pk_mul_f32 v[246:247], v[202:203], s[40:41] op_sel_hi:[1,0]
	v_mov_b32_e32 v128, v9
	v_pk_fma_f32 v[156:157], v[200:201], s[10:11], v[246:247] op_sel:[0,0,1] op_sel_hi:[1,0,0]
	v_pk_fma_f32 v[246:247], v[200:201], s[10:11], v[246:247] op_sel:[0,0,1] op_sel_hi:[1,0,0] neg_lo:[0,0,1] neg_hi:[0,0,1]
	v_mov_b32_e32 v252, v156
	v_mov_b32_e32 v253, v247
	v_pk_add_f32 v[10:11], v[252:253], v[10:11]
	v_pk_mul_f32 v[252:253], v[198:199], s[54:55] op_sel_hi:[1,0]
	v_mov_b32_e32 v54, v100
	v_pk_fma_f32 v[194:195], v[192:193], s[24:25], v[252:253] op_sel:[0,0,1] op_sel_hi:[1,0,0]
	v_pk_fma_f32 v[252:253], v[192:193], s[24:25], v[252:253] op_sel:[0,0,1] op_sel_hi:[1,0,0] neg_lo:[0,0,1] neg_hi:[0,0,1]
	v_mov_b32_e32 v180, v194
	v_mov_b32_e32 v181, v253
	v_pk_add_f32 v[10:11], v[180:181], v[10:11]
	v_pk_mul_f32 v[180:181], v[186:187], s[28:29] op_sel_hi:[1,0]
	v_mov_b32_e32 v9, v101
	v_pk_fma_f32 v[224:225], v[184:185], s[18:19], v[180:181] op_sel:[0,0,1] op_sel_hi:[1,0,0]
	v_pk_fma_f32 v[180:181], v[184:185], s[18:19], v[180:181] op_sel:[0,0,1] op_sel_hi:[1,0,0] neg_lo:[0,0,1] neg_hi:[0,0,1]
	v_mov_b32_e32 v216, v224
	v_mov_b32_e32 v217, v181
	v_pk_add_f32 v[10:11], v[216:217], v[10:11]
	v_pk_mul_f32 v[216:217], v[178:179], s[38:39] op_sel_hi:[1,0]
	v_accvgpr_write_b32 a4, v92
	v_pk_fma_f32 v[236:237], v[176:177], s[36:37], v[216:217] op_sel:[0,0,1] op_sel_hi:[1,0,0]
	v_pk_fma_f32 v[216:217], v[176:177], s[36:37], v[216:217] op_sel:[0,0,1] op_sel_hi:[1,0,0] neg_lo:[0,0,1] neg_hi:[0,0,1]
	v_mov_b32_e32 v228, v236
	v_mov_b32_e32 v229, v217
	v_pk_add_f32 v[10:11], v[228:229], v[10:11]
	v_pk_mul_f32 v[228:229], v[170:171], s[48:49] op_sel_hi:[1,0]
	v_accvgpr_write_b32 a5, v93
	v_pk_fma_f32 v[88:89], v[168:169], s[16:17], v[228:229] op_sel:[0,0,1] op_sel_hi:[1,0,0]
	v_pk_fma_f32 v[228:229], v[168:169], s[16:17], v[228:229] op_sel:[0,0,1] op_sel_hi:[1,0,0] neg_lo:[0,0,1] neg_hi:[0,0,1]
	v_mov_b32_e32 v100, v88
	v_mov_b32_e32 v101, v229
	v_pk_add_f32 v[10:11], v[100:101], v[10:11]
	v_pk_mul_f32 v[100:101], v[162:163], s[22:23] op_sel_hi:[1,0]
	v_accvgpr_write_b32 a2, v90
	v_pk_fma_f32 v[92:93], v[160:161], s[20:21], v[100:101] op_sel:[0,0,1] op_sel_hi:[1,0,0]
	v_pk_fma_f32 v[100:101], v[160:161], s[20:21], v[100:101] op_sel:[0,0,1] op_sel_hi:[1,0,0] neg_lo:[0,0,1] neg_hi:[0,0,1]
	v_accvgpr_write_b32 a3, v91
	v_mov_b32_e32 v90, v92
	v_mov_b32_e32 v91, v101
	v_pk_add_f32 v[10:11], v[90:91], v[10:11]
	ds_write2_b64 v81, v[148:149], v[10:11] offset0:6 offset1:7
	v_pk_mul_f32 v[10:11], v[210:211], s[38:39] op_sel_hi:[1,0]
	v_pk_mul_f32 v[148:149], v[208:209], s[46:47] op_sel_hi:[1,0]
	v_pk_fma_f32 v[90:91], v[206:207], s[36:37], v[10:11] op_sel:[0,0,1] op_sel_hi:[1,0,0]
	v_pk_fma_f32 v[10:11], v[206:207], s[36:37], v[10:11] op_sel:[0,0,1] op_sel_hi:[1,0,0] neg_lo:[0,0,1] neg_hi:[0,0,1]
	v_pk_fma_f32 v[206:207], v[204:205], s[18:19], v[148:149] op_sel:[0,0,1] op_sel_hi:[1,0,0]
	v_pk_fma_f32 v[148:149], v[204:205], s[18:19], v[148:149] op_sel:[0,0,1] op_sel_hi:[1,0,0] neg_lo:[0,0,1] neg_hi:[0,0,1]
	v_mov_b32_e32 v204, v90
	v_mov_b32_e32 v205, v11
	v_pk_add_f32 v[204:205], v[52:53], v[204:205]
	v_mov_b32_e32 v208, v206
	v_mov_b32_e32 v209, v149
	v_pk_mul_f32 v[202:203], v[202:203], s[34:35] op_sel_hi:[1,0]
	v_pk_add_f32 v[204:205], v[208:209], v[204:205]
	v_pk_fma_f32 v[208:209], v[200:201], s[30:31], v[202:203] op_sel:[0,0,1] op_sel_hi:[1,0,0]
	v_pk_fma_f32 v[200:201], v[200:201], s[30:31], v[202:203] op_sel:[0,0,1] op_sel_hi:[1,0,0] neg_lo:[0,0,1] neg_hi:[0,0,1]
	v_mov_b32_e32 v202, v208
	v_mov_b32_e32 v203, v201
	v_pk_mul_f32 v[198:199], v[198:199], s[48:49] op_sel_hi:[1,0]
	v_pk_add_f32 v[202:203], v[202:203], v[204:205]
	v_pk_fma_f32 v[204:205], v[192:193], s[16:17], v[198:199] op_sel:[0,0,1] op_sel_hi:[1,0,0]
	v_pk_fma_f32 v[192:193], v[192:193], s[16:17], v[198:199] op_sel:[0,0,1] op_sel_hi:[1,0,0] neg_lo:[0,0,1] neg_hi:[0,0,1]
	v_mov_b32_e32 v198, v204
	v_mov_b32_e32 v199, v193
	v_pk_mul_f32 v[186:187], v[186:187], s[26:27] op_sel_hi:[1,0]
	v_pk_add_f32 v[198:199], v[198:199], v[202:203]
	v_pk_fma_f32 v[202:203], v[184:185], s[24:25], v[186:187] op_sel:[0,0,1] op_sel_hi:[1,0,0]
	v_pk_fma_f32 v[184:185], v[184:185], s[24:25], v[186:187] op_sel:[0,0,1] op_sel_hi:[1,0,0] neg_lo:[0,0,1] neg_hi:[0,0,1]
	v_mov_b32_e32 v11, v91
	v_mov_b32_e32 v186, v202
	;; [unrolled: 1-line block ×3, first 2 shown]
	v_pk_mul_f32 v[178:179], v[178:179], s[42:43] op_sel_hi:[1,0]
	v_mov_b32_e32 v149, v207
	v_pk_add_f32 v[10:11], v[52:53], v[10:11]
	v_pk_add_f32 v[186:187], v[186:187], v[198:199]
	v_pk_fma_f32 v[198:199], v[176:177], s[14:15], v[178:179] op_sel:[0,0,1] op_sel_hi:[1,0,0]
	v_pk_fma_f32 v[176:177], v[176:177], s[14:15], v[178:179] op_sel:[0,0,1] op_sel_hi:[1,0,0] neg_lo:[0,0,1] neg_hi:[0,0,1]
	v_pk_add_f32 v[10:11], v[148:149], v[10:11]
	v_mov_b32_e32 v201, v209
	v_mov_b32_e32 v178, v198
	;; [unrolled: 1-line block ×3, first 2 shown]
	v_pk_mul_f32 v[170:171], v[170:171], s[22:23] op_sel_hi:[1,0]
	v_pk_add_f32 v[10:11], v[200:201], v[10:11]
	v_mov_b32_e32 v193, v205
	v_pk_add_f32 v[178:179], v[178:179], v[186:187]
	v_pk_fma_f32 v[186:187], v[168:169], s[20:21], v[170:171] op_sel:[0,0,1] op_sel_hi:[1,0,0]
	v_pk_fma_f32 v[168:169], v[168:169], s[20:21], v[170:171] op_sel:[0,0,1] op_sel_hi:[1,0,0] neg_lo:[0,0,1] neg_hi:[0,0,1]
	v_pk_add_f32 v[10:11], v[192:193], v[10:11]
	v_mov_b32_e32 v185, v203
	v_mov_b32_e32 v170, v186
	;; [unrolled: 1-line block ×3, first 2 shown]
	v_pk_mul_f32 v[162:163], v[162:163], s[50:51] op_sel_hi:[1,0]
	v_pk_add_f32 v[10:11], v[184:185], v[10:11]
	v_mov_b32_e32 v177, v199
	v_pk_add_f32 v[170:171], v[170:171], v[178:179]
	v_pk_fma_f32 v[178:179], v[160:161], s[10:11], v[162:163] op_sel:[0,0,1] op_sel_hi:[1,0,0]
	v_pk_fma_f32 v[160:161], v[160:161], s[10:11], v[162:163] op_sel:[0,0,1] op_sel_hi:[1,0,0] neg_lo:[0,0,1] neg_hi:[0,0,1]
	v_pk_add_f32 v[10:11], v[176:177], v[10:11]
	v_mov_b32_e32 v169, v187
	v_mov_b32_e32 v162, v178
	;; [unrolled: 1-line block ×3, first 2 shown]
	v_pk_add_f32 v[10:11], v[168:169], v[10:11]
	v_mov_b32_e32 v161, v179
	v_pk_add_f32 v[162:163], v[162:163], v[170:171]
	v_pk_add_f32 v[10:11], v[160:161], v[10:11]
	v_mov_b32_e32 v241, v55
	ds_write2_b64 v81, v[162:163], v[10:11] offset0:8 offset1:9
	v_mov_b32_e32 v87, v251
	v_pk_add_f32 v[10:11], v[52:53], v[240:241]
	v_mov_b32_e32 v247, v157
	v_pk_add_f32 v[10:11], v[86:87], v[10:11]
	;; [unrolled: 2-line block ×8, first 2 shown]
	v_mov_b32_e32 v100, v54
	v_mov_b32_e32 v165, v137
	v_pk_add_f32 v[54:55], v[52:53], v[116:117]
	v_mov_b32_e32 v173, v129
	v_pk_add_f32 v[54:55], v[164:165], v[54:55]
	;; [unrolled: 2-line block ×8, first 2 shown]
	ds_write2_b64 v81, v[10:11], v[54:55] offset0:10 offset1:11
	v_mov_b32_e32 v249, v219
	v_pk_add_f32 v[10:11], v[52:53], v[244:245]
	v_mov_b32_e32 v255, v223
	v_pk_add_f32 v[10:11], v[248:249], v[10:11]
	;; [unrolled: 2-line block ×3, first 2 shown]
	v_mov_b32_e32 v9, v227
	v_mov_b32_e32 v215, v151
	v_pk_add_f32 v[8:9], v[8:9], v[10:11]
	v_pk_add_f32 v[10:11], v[52:53], v[214:215]
	v_mov_b32_e32 v219, v155
	v_pk_add_f32 v[10:11], v[218:219], v[10:11]
	v_mov_b32_e32 v223, v159
	v_pk_add_f32 v[10:11], v[222:223], v[10:11]
	v_mov_b32_e32 v227, v167
	v_mov_b32_e32 v85, v231
	v_pk_add_f32 v[10:11], v[226:227], v[10:11]
	v_mov_b32_e32 v231, v175
	v_pk_add_f32 v[8:9], v[84:85], v[8:9]
	;; [unrolled: 2-line block ×8, first 2 shown]
	v_pk_add_f32 v[10:11], v[242:243], v[10:11]
	v_mov_b32_e32 v151, v119
	v_accvgpr_read_b32 v119, a25
	ds_write2_b64 v81, v[8:9], v[10:11] offset0:12 offset1:13
	v_pk_add_f32 v[8:9], v[52:53], v[150:151]
	v_mov_b32_e32 v155, v123
	v_pk_add_f32 v[10:11], v[52:53], v[118:119]
	v_accvgpr_read_b32 v123, a27
	v_pk_add_f32 v[8:9], v[154:155], v[8:9]
	v_mov_b32_e32 v159, v127
	v_pk_add_f32 v[10:11], v[122:123], v[10:11]
	v_accvgpr_read_b32 v127, a29
	;; [unrolled: 4-line block ×7, first 2 shown]
	v_mov_b32_e32 v129, v63
	v_pk_add_f32 v[8:9], v[196:197], v[8:9]
	v_pk_add_f32 v[10:11], v[146:147], v[10:11]
	v_accvgpr_read_b32 v63, a9
	v_mov_b32_e32 v117, v59
	ds_write2_b64 v81, v[8:9], v[10:11] offset0:14 offset1:15
	v_pk_add_f32 v[8:9], v[52:53], v[62:63]
	v_accvgpr_read_b32 v59, a11
	v_mov_b32_e32 v119, v61
	v_pk_add_f32 v[8:9], v[58:59], v[8:9]
	v_accvgpr_read_b32 v61, a13
	v_mov_b32_e32 v130, v65
	;; [unrolled: 3-line block ×5, first 2 shown]
	v_pk_add_f32 v[8:9], v[72:73], v[8:9]
	v_accvgpr_read_b32 v77, a21
	v_accvgpr_read_b32 v91, a3
	;; [unrolled: 1-line block ×4, first 2 shown]
	v_mov_b32_e32 v116, v57
	v_accvgpr_read_b32 v127, a7
	v_pk_add_f32 v[8:9], v[76:77], v[8:9]
	v_accvgpr_read_b32 v57, a23
	v_accvgpr_read_b32 v90, a2
	;; [unrolled: 1-line block ×5, first 2 shown]
	v_pk_add_f32 v[8:9], v[56:57], v[8:9]
	ds_write_b64 v81, v[8:9] offset:128
.LBB0_13:
	s_or_b64 exec, exec, s[0:1]
	v_add_u32_e32 v8, 0x2c00, v83
	s_waitcnt lgkmcnt(0)
	s_barrier
	ds_read2_b64 v[52:55], v8 offset0:20 offset1:139
	v_add_u32_e32 v9, 0x1400, v83
	ds_read2_b64 v[56:59], v9 offset0:74 offset1:193
	s_mov_b32 s16, 0x3f08b237
	s_mov_b32 s22, 0x3d64c772
	s_waitcnt lgkmcnt(1)
	v_pk_mul_f32 v[10:11], v[98:99], v[54:55]
	v_pk_mul_f32 v[68:69], v[96:97], v[52:53]
	v_pk_fma_f32 v[60:61], v[114:115], v[54:55], v[10:11] op_sel:[0,0,1] op_sel_hi:[1,1,0]
	v_pk_fma_f32 v[10:11], v[114:115], v[54:55], v[10:11] op_sel:[0,0,1] op_sel_hi:[1,1,0] neg_lo:[0,0,1] neg_hi:[0,0,1]
	v_pk_fma_f32 v[70:71], v[112:113], v[52:53], v[68:69] op_sel:[0,0,1] op_sel_hi:[1,1,0]
	v_add_u32_e32 v10, 0x2400, v83
	ds_read2_b64 v[64:67], v10 offset0:38 offset1:157
	v_mov_b32_e32 v61, v11
	v_add_u32_e32 v11, 0xc00, v83
	s_waitcnt lgkmcnt(1)
	v_pk_add_f32 v[54:55], v[56:57], v[60:61] neg_lo:[0,1] neg_hi:[0,1]
	ds_read2_b64 v[60:63], v11 offset0:92 offset1:211
	v_pk_fma_f32 v[52:53], v[112:113], v[52:53], v[68:69] op_sel:[0,0,1] op_sel_hi:[1,1,0] neg_lo:[0,0,1] neg_hi:[0,0,1]
	s_waitcnt lgkmcnt(1)
	v_pk_mul_f32 v[74:75], v[94:95], v[64:65]
	v_mov_b32_e32 v71, v53
	v_pk_mul_f32 v[52:53], v[90:91], v[66:67]
	s_waitcnt lgkmcnt(0)
	v_pk_add_f32 v[76:77], v[62:63], v[70:71] neg_lo:[0,1] neg_hi:[0,1]
	v_pk_fma_f32 v[68:69], v[110:111], v[66:67], v[52:53] op_sel:[0,0,1] op_sel_hi:[1,1,0]
	v_pk_fma_f32 v[52:53], v[110:111], v[66:67], v[52:53] op_sel:[0,0,1] op_sel_hi:[1,1,0] neg_lo:[0,0,1] neg_hi:[0,0,1]
	v_pk_fma_f32 v[84:85], v[108:109], v[64:65], v[74:75] op_sel:[0,0,1] op_sel_hi:[1,1,0]
	v_add_u32_e32 v52, 0x1c00, v83
	v_mov_b32_e32 v69, v53
	v_add_u32_e32 v53, 0x400, v83
	ds_read2_b64 v[70:73], v52 offset0:56 offset1:175
	v_pk_add_f32 v[78:79], v[60:61], v[68:69] neg_lo:[0,1] neg_hi:[0,1]
	ds_read2_b64 v[66:69], v53 offset0:110 offset1:229
	v_pk_fma_f32 v[64:65], v[108:109], v[64:65], v[74:75] op_sel:[0,0,1] op_sel_hi:[1,1,0] neg_lo:[0,0,1] neg_hi:[0,0,1]
	v_pk_fma_f32 v[56:57], v[56:57], 2.0, v[54:55] op_sel_hi:[1,0,1] neg_lo:[0,0,1] neg_hi:[0,0,1]
	v_mov_b32_e32 v85, v65
	s_waitcnt lgkmcnt(1)
	v_pk_mul_f32 v[74:75], v[88:89], v[72:73]
	s_waitcnt lgkmcnt(0)
	v_pk_add_f32 v[64:65], v[68:69], v[84:85] neg_lo:[0,1] neg_hi:[0,1]
	v_pk_fma_f32 v[84:85], v[106:107], v[72:73], v[74:75] op_sel:[0,0,1] op_sel_hi:[1,1,0]
	v_pk_fma_f32 v[72:73], v[106:107], v[72:73], v[74:75] op_sel:[0,0,1] op_sel_hi:[1,1,0] neg_lo:[0,0,1] neg_hi:[0,0,1]
	v_pk_mul_f32 v[86:87], v[126:127], v[70:71]
	v_mov_b32_e32 v85, v73
	ds_read2_b64 v[72:75], v83 offset1:119
	v_pk_fma_f32 v[88:89], v[104:105], v[70:71], v[86:87] op_sel:[0,0,1] op_sel_hi:[1,1,0]
	v_pk_fma_f32 v[70:71], v[104:105], v[70:71], v[86:87] op_sel:[0,0,1] op_sel_hi:[1,1,0] neg_lo:[0,0,1] neg_hi:[0,0,1]
	v_pk_mul_f32 v[86:87], v[92:93], v[58:59]
	v_mov_b32_e32 v89, v71
	s_waitcnt lgkmcnt(0)
	v_pk_add_f32 v[70:71], v[74:75], v[88:89] neg_lo:[0,1] neg_hi:[0,1]
	v_pk_fma_f32 v[88:89], v[102:103], v[58:59], v[86:87] op_sel:[0,0,1] op_sel_hi:[1,1,0]
	v_pk_fma_f32 v[58:59], v[102:103], v[58:59], v[86:87] op_sel:[0,0,1] op_sel_hi:[1,1,0] neg_lo:[0,0,1] neg_hi:[0,0,1]
	v_pk_add_f32 v[84:85], v[66:67], v[84:85] neg_lo:[0,1] neg_hi:[0,1]
	v_mov_b32_e32 v89, v59
	v_pk_add_f32 v[58:59], v[72:73], v[88:89] neg_lo:[0,1] neg_hi:[0,1]
	v_pk_fma_f32 v[74:75], v[74:75], 2.0, v[70:71] op_sel_hi:[1,0,1] neg_lo:[0,0,1] neg_hi:[0,0,1]
	v_pk_fma_f32 v[72:73], v[72:73], 2.0, v[58:59] op_sel_hi:[1,0,1] neg_lo:[0,0,1] neg_hi:[0,0,1]
	s_barrier
	ds_write2_b64 v119, v[72:73], v[58:59] offset1:17
	ds_write2_b64 v128, v[74:75], v[70:71] offset1:17
	v_pk_fma_f32 v[58:59], v[66:67], 2.0, v[84:85] op_sel_hi:[1,0,1] neg_lo:[0,0,1] neg_hi:[0,0,1]
	ds_write2_b64 v133, v[58:59], v[84:85] offset1:17
	v_pk_fma_f32 v[58:59], v[68:69], 2.0, v[64:65] op_sel_hi:[1,0,1] neg_lo:[0,0,1] neg_hi:[0,0,1]
	ds_write2_b64 v132, v[58:59], v[64:65] offset1:17
	v_pk_fma_f32 v[58:59], v[60:61], 2.0, v[78:79] op_sel_hi:[1,0,1] neg_lo:[0,0,1] neg_hi:[0,0,1]
	ds_write2_b64 v131, v[58:59], v[78:79] offset1:17
	v_pk_fma_f32 v[58:59], v[62:63], 2.0, v[76:77] op_sel_hi:[1,0,1] neg_lo:[0,0,1] neg_hi:[0,0,1]
	ds_write2_b64 v130, v[58:59], v[76:77] offset1:17
	ds_write2_b64 v129, v[56:57], v[54:55] offset1:17
	s_waitcnt lgkmcnt(0)
	s_barrier
	ds_read2_b64 v[54:57], v9 offset0:74 offset1:193
	ds_read2_b64 v[58:61], v53 offset0:110 offset1:229
	ds_read2_b64 v[62:65], v11 offset0:92 offset1:211
	ds_read2_b64 v[66:69], v10 offset0:38 offset1:157
	ds_read2_b64 v[70:73], v8 offset0:20 offset1:139
	ds_read2_b64 v[74:77], v52 offset0:56 offset1:175
	s_waitcnt lgkmcnt(5)
	v_pk_mul_f32 v[86:87], v[28:29], v[54:55] op_sel:[0,1] op_sel_hi:[1,0]
	v_mov_b32_e32 v84, v29
	v_mov_b32_e32 v86, v87
	v_pk_mul_f32 v[78:79], v[28:29], v[54:55]
	v_pk_mul_f32 v[84:85], v[84:85], v[54:55] op_sel:[0,1] op_sel_hi:[1,0]
	v_pk_fma_f32 v[54:55], v[28:29], v[54:55], v[86:87] op_sel:[0,1,0] op_sel_hi:[1,0,1] neg_lo:[0,0,1] neg_hi:[0,0,1]
	v_mov_b32_e32 v28, v31
	s_waitcnt lgkmcnt(0)
	v_pk_mul_f32 v[88:89], v[28:29], v[74:75] op_sel:[0,1] op_sel_hi:[1,0]
	v_pk_mul_f32 v[28:29], v[30:31], v[74:75] op_sel:[0,1] op_sel_hi:[1,0]
	v_pk_mul_f32 v[86:87], v[30:31], v[74:75]
	v_mov_b32_e32 v28, v29
	v_pk_fma_f32 v[74:75], v[30:31], v[74:75], v[28:29] op_sel:[0,1,0] op_sel_hi:[1,0,1] neg_lo:[0,0,1] neg_hi:[0,0,1]
	v_mov_b32_e32 v28, v33
	v_pk_mul_f32 v[92:93], v[28:29], v[56:57] op_sel:[0,1] op_sel_hi:[1,0]
	v_pk_mul_f32 v[28:29], v[32:33], v[56:57] op_sel:[0,1] op_sel_hi:[1,0]
	v_pk_mul_f32 v[90:91], v[32:33], v[56:57]
	v_mov_b32_e32 v28, v29
	v_pk_fma_f32 v[32:33], v[32:33], v[56:57], v[28:29] op_sel:[0,1,0] op_sel_hi:[1,0,1] neg_lo:[0,0,1] neg_hi:[0,0,1]
	v_mov_b32_e32 v28, v35
	;; [unrolled: 6-line block ×3, first 2 shown]
	v_pk_mul_f32 v[96:97], v[24:25], v[58:59] op_sel_hi:[1,0]
	ds_read2_b64 v[28:31], v83 offset1:119
	v_pk_fma_f32 v[76:77], v[24:25], v[76:77], v[96:97] op_sel:[0,0,1] op_sel_hi:[1,1,0] neg_lo:[0,0,1] neg_hi:[0,0,1]
	v_pk_fma_f32 v[24:25], v[24:25], v[58:59], v[96:97] op_sel:[0,1,1] op_sel_hi:[1,1,0]
	v_pk_mul_f32 v[58:59], v[26:27], v[62:63] op_sel_hi:[1,0]
	v_mov_b32_e32 v24, v63
	v_mov_b32_e32 v77, v25
	v_pk_fma_f32 v[24:25], v[26:27], v[24:25], v[58:59] op_sel:[0,0,1] op_sel_hi:[1,1,0] neg_lo:[0,0,1] neg_hi:[0,0,1]
	v_pk_fma_f32 v[26:27], v[26:27], v[62:63], v[58:59] op_sel:[0,1,1] op_sel_hi:[1,1,0]
	v_pk_mul_f32 v[58:59], v[20:21], v[66:67] op_sel_hi:[1,0]
	v_mov_b32_e32 v26, v67
	v_mov_b32_e32 v25, v27
	v_pk_fma_f32 v[26:27], v[20:21], v[26:27], v[58:59] op_sel:[0,0,1] op_sel_hi:[1,1,0] neg_lo:[0,0,1] neg_hi:[0,0,1]
	v_pk_fma_f32 v[20:21], v[20:21], v[66:67], v[58:59] op_sel:[0,1,1] op_sel_hi:[1,1,0]
	v_pk_mul_f32 v[58:59], v[22:23], v[70:71] op_sel_hi:[1,0]
	v_mov_b32_e32 v20, v71
	v_mov_b32_e32 v27, v21
	v_pk_fma_f32 v[20:21], v[22:23], v[20:21], v[58:59] op_sel:[0,0,1] op_sel_hi:[1,1,0] neg_lo:[0,0,1] neg_hi:[0,0,1]
	v_pk_fma_f32 v[22:23], v[22:23], v[70:71], v[58:59] op_sel:[0,1,1] op_sel_hi:[1,1,0]
	v_mov_b32_e32 v87, v76
	v_mov_b32_e32 v21, v23
	;; [unrolled: 1-line block ×5, first 2 shown]
	v_pk_add_f32 v[22:23], v[76:77], v[20:21]
	v_pk_add_f32 v[58:59], v[76:77], v[20:21] neg_lo:[0,1] neg_hi:[0,1]
	v_pk_add_f32 v[62:63], v[24:25], v[26:27]
	v_pk_add_f32 v[66:67], v[24:25], v[26:27] neg_lo:[0,1] neg_hi:[0,1]
	v_pk_add_f32 v[20:21], v[86:87], v[88:89]
	v_pk_add_f32 v[24:25], v[78:79], v[84:85]
	v_mov_b32_e32 v75, v20
	v_mov_b32_e32 v55, v24
	v_pk_add_f32 v[26:27], v[74:75], v[54:55] neg_lo:[0,1] neg_hi:[0,1]
	v_mov_b32_e32 v84, v63
	v_mov_b32_e32 v85, v54
	;; [unrolled: 1-line block ×4, first 2 shown]
	v_pk_add_f32 v[54:55], v[84:85], v[54:55]
	v_pk_add_f32 v[74:75], v[24:25], v[20:21]
	v_mov_b32_e32 v70, v26
	v_mov_b32_e32 v71, v59
	;; [unrolled: 1-line block ×6, first 2 shown]
	v_pk_add_f32 v[70:71], v[70:71], v[76:77] neg_lo:[0,1] neg_hi:[0,1]
	s_mov_b32 s17, 0xbeae86e6
	v_mov_b32_e32 v76, v58
	v_mov_b32_e32 v78, v26
	;; [unrolled: 1-line block ×3, first 2 shown]
	v_pk_add_f32 v[84:85], v[20:21], v[84:85] neg_lo:[0,1] neg_hi:[0,1]
	v_mov_b32_e32 v86, v23
	v_mov_b32_e32 v87, v55
	;; [unrolled: 1-line block ×3, first 2 shown]
	v_pk_add_f32 v[54:55], v[54:55], v[74:75]
	s_mov_b32 s23, 0x3f4a47b2
	v_pk_mul_f32 v[70:71], v[70:71], s[16:17]
	v_pk_add_f32 v[76:77], v[76:77], v[78:79] neg_lo:[0,1] neg_hi:[0,1]
	s_mov_b32 s10, s17
	s_mov_b32 s11, s16
	v_pk_add_f32 v[26:27], v[26:27], v[66:67]
	v_pk_add_f32 v[86:87], v[86:87], v[24:25] neg_lo:[0,1] neg_hi:[0,1]
	s_waitcnt lgkmcnt(0)
	v_pk_add_f32 v[28:29], v[28:29], v[54:55]
	s_mov_b32 s20, 0x3f955555
	v_pk_mul_f32 v[74:75], v[84:85], s[22:23]
	s_mov_b32 s24, s23
	s_mov_b32 s25, s22
	v_pk_mul_f32 v[78:79], v[76:77], s[10:11]
	v_pk_add_f32 v[26:27], v[26:27], v[58:59]
	s_mov_b32 s0, 0xbee1c552
	v_pk_mul_f32 v[84:85], v[86:87], s[24:25]
	v_pk_fma_f32 v[54:55], v[54:55], s[20:21], v[28:29] op_sel_hi:[1,0,1] neg_lo:[1,0,0] neg_hi:[1,0,0]
	v_pk_fma_f32 v[86:87], v[86:87], s[24:25], v[74:75]
	v_pk_fma_f32 v[76:77], v[76:77], s[10:11], v[70:71]
	v_pk_add_f32 v[86:87], v[86:87], v[54:55]
	v_pk_fma_f32 v[76:77], v[26:27], s[0:1], v[76:77] op_sel_hi:[1,0,1]
	v_mov_b32_e32 v24, v63
	v_pk_add_f32 v[88:89], v[86:87], v[76:77]
	v_pk_add_f32 v[76:77], v[86:87], v[76:77] neg_lo:[0,1] neg_hi:[0,1]
	v_mov_b32_e32 v86, v88
	v_mov_b32_e32 v87, v77
	;; [unrolled: 1-line block ×3, first 2 shown]
	s_barrier
	ds_write2_b64 v117, v[28:29], v[86:87] offset1:34
	v_pk_add_f32 v[28:29], v[66:67], v[58:59] neg_lo:[0,1] neg_hi:[0,1]
	s_mov_b32 s14, 0xbf5ff5aa
	v_pk_add_f32 v[20:21], v[24:25], v[20:21] neg_lo:[0,1] neg_hi:[0,1]
	s_mov_b32 s18, 0x3f3bfb3b
	v_mov_b32_e32 v22, v84
	v_mov_b32_e32 v23, v75
	v_mov_b32_e32 v24, v78
	v_mov_b32_e32 v25, v71
	v_mov_b32_e32 v75, v85
	v_mov_b32_e32 v71, v79
	v_pk_fma_f32 v[22:23], v[20:21], s[18:19], v[22:23] op_sel_hi:[1,0,1] neg_lo:[1,0,1] neg_hi:[1,0,1]
	v_pk_fma_f32 v[24:25], v[28:29], s[14:15], v[24:25] op_sel_hi:[1,0,1] neg_lo:[1,0,1] neg_hi:[1,0,1]
	;; [unrolled: 1-line block ×4, first 2 shown]
	v_pk_add_f32 v[22:23], v[22:23], v[54:55]
	v_pk_fma_f32 v[24:25], v[26:27], s[0:1], v[24:25] op_sel_hi:[1,0,1]
	v_pk_add_f32 v[20:21], v[20:21], v[54:55]
	v_pk_fma_f32 v[26:27], v[26:27], s[0:1], v[28:29] op_sel_hi:[1,0,1]
	v_pk_add_f32 v[58:59], v[22:23], v[24:25]
	v_pk_add_f32 v[22:23], v[22:23], v[24:25] neg_lo:[0,1] neg_hi:[0,1]
	v_pk_add_f32 v[28:29], v[20:21], v[26:27] neg_lo:[0,1] neg_hi:[0,1]
	v_pk_add_f32 v[20:21], v[20:21], v[26:27]
	v_mov_b32_e32 v25, v23
	v_mov_b32_e32 v27, v21
	;; [unrolled: 1-line block ×4, first 2 shown]
	ds_write2_b64 v117, v[20:21], v[22:23] offset0:136 offset1:170
	v_mov_b32_e32 v20, v61
	v_pk_mul_f32 v[22:23], v[4:5], v[60:61] op_sel_hi:[1,0]
	v_mov_b32_e32 v24, v58
	v_pk_fma_f32 v[20:21], v[4:5], v[20:21], v[22:23] op_sel:[0,0,1] op_sel_hi:[1,1,0] neg_lo:[0,0,1] neg_hi:[0,0,1]
	v_pk_fma_f32 v[4:5], v[4:5], v[60:61], v[22:23] op_sel:[0,1,1] op_sel_hi:[1,1,0]
	v_pk_mul_f32 v[22:23], v[6:7], v[64:65] op_sel_hi:[1,0]
	v_mov_b32_e32 v4, v65
	v_mov_b32_e32 v21, v5
	v_pk_fma_f32 v[4:5], v[6:7], v[4:5], v[22:23] op_sel:[0,0,1] op_sel_hi:[1,1,0] neg_lo:[0,0,1] neg_hi:[0,0,1]
	v_pk_fma_f32 v[6:7], v[6:7], v[64:65], v[22:23] op_sel:[0,1,1] op_sel_hi:[1,1,0]
	v_pk_mul_f32 v[22:23], v[0:1], v[68:69] op_sel_hi:[1,0]
	v_mov_b32_e32 v6, v69
	;; [unrolled: 5-line block ×3, first 2 shown]
	v_mov_b32_e32 v7, v1
	v_pk_fma_f32 v[0:1], v[2:3], v[0:1], v[22:23] op_sel:[0,0,1] op_sel_hi:[1,1,0] neg_lo:[0,0,1] neg_hi:[0,0,1]
	v_pk_fma_f32 v[2:3], v[2:3], v[72:73], v[22:23] op_sel:[0,1,1] op_sel_hi:[1,1,0]
	v_mov_b32_e32 v26, v28
	v_mov_b32_e32 v1, v3
	;; [unrolled: 1-line block ×6, first 2 shown]
	ds_write2_b64 v117, v[24:25], v[26:27] offset0:68 offset1:102
	v_pk_add_f32 v[2:3], v[20:21], v[0:1]
	v_pk_add_f32 v[22:23], v[20:21], v[0:1] neg_lo:[0,1] neg_hi:[0,1]
	v_pk_add_f32 v[24:25], v[4:5], v[6:7]
	v_pk_add_f32 v[26:27], v[4:5], v[6:7] neg_lo:[0,1] neg_hi:[0,1]
	v_pk_add_f32 v[0:1], v[56:57], v[94:95]
	v_pk_add_f32 v[4:5], v[90:91], v[92:93]
	v_mov_b32_e32 v35, v0
	v_mov_b32_e32 v33, v4
	v_pk_add_f32 v[6:7], v[34:35], v[32:33] neg_lo:[0,1] neg_hi:[0,1]
	v_mov_b32_e32 v56, v25
	v_mov_b32_e32 v57, v32
	;; [unrolled: 1-line block ×8, first 2 shown]
	v_pk_add_f32 v[32:33], v[56:57], v[32:33]
	v_pk_add_f32 v[34:35], v[4:5], v[0:1]
	v_pk_add_f32 v[20:21], v[20:21], v[28:29] neg_lo:[0,1] neg_hi:[0,1]
	v_mov_b32_e32 v28, v22
	v_mov_b32_e32 v54, v6
	;; [unrolled: 1-line block ×8, first 2 shown]
	v_pk_add_f32 v[28:29], v[28:29], v[54:55] neg_lo:[0,1] neg_hi:[0,1]
	v_pk_add_f32 v[56:57], v[0:1], v[56:57] neg_lo:[0,1] neg_hi:[0,1]
	;; [unrolled: 1-line block ×3, first 2 shown]
	v_pk_mul_f32 v[20:21], v[20:21], s[16:17]
	v_pk_mul_f32 v[54:55], v[28:29], s[10:11]
	v_pk_add_f32 v[6:7], v[6:7], v[26:27]
	v_pk_add_f32 v[32:33], v[32:33], v[34:35]
	v_pk_mul_f32 v[34:35], v[56:57], s[22:23]
	v_pk_mul_f32 v[56:57], v[58:59], s[24:25]
	v_mov_b32_e32 v4, v25
	v_mov_b32_e32 v0, v3
	v_pk_add_f32 v[6:7], v[6:7], v[22:23]
	v_pk_add_f32 v[30:31], v[30:31], v[32:33]
	v_pk_fma_f32 v[58:59], v[58:59], s[24:25], v[34:35]
	v_pk_fma_f32 v[28:29], v[28:29], s[10:11], v[20:21]
	v_pk_add_f32 v[22:23], v[26:27], v[22:23] neg_lo:[0,1] neg_hi:[0,1]
	v_pk_add_f32 v[0:1], v[4:5], v[0:1] neg_lo:[0,1] neg_hi:[0,1]
	v_mov_b32_e32 v2, v56
	v_mov_b32_e32 v3, v35
	;; [unrolled: 1-line block ×6, first 2 shown]
	v_pk_fma_f32 v[32:33], v[32:33], s[20:21], v[30:31] op_sel_hi:[1,0,1] neg_lo:[1,0,0] neg_hi:[1,0,0]
	v_pk_fma_f32 v[2:3], v[0:1], s[18:19], v[2:3] op_sel_hi:[1,0,1] neg_lo:[1,0,1] neg_hi:[1,0,1]
	;; [unrolled: 1-line block ×5, first 2 shown]
	v_pk_add_f32 v[58:59], v[58:59], v[32:33]
	v_pk_fma_f32 v[28:29], v[6:7], s[0:1], v[28:29] op_sel_hi:[1,0,1]
	v_pk_add_f32 v[2:3], v[2:3], v[32:33]
	v_pk_fma_f32 v[4:5], v[6:7], s[0:1], v[4:5] op_sel_hi:[1,0,1]
	;; [unrolled: 2-line block ×3, first 2 shown]
	v_pk_add_f32 v[60:61], v[58:59], v[28:29]
	v_pk_add_f32 v[28:29], v[58:59], v[28:29] neg_lo:[0,1] neg_hi:[0,1]
	v_pk_add_f32 v[24:25], v[2:3], v[4:5]
	v_pk_add_f32 v[2:3], v[2:3], v[4:5] neg_lo:[0,1] neg_hi:[0,1]
	v_pk_add_f32 v[20:21], v[0:1], v[6:7] neg_lo:[0,1] neg_hi:[0,1]
	v_pk_add_f32 v[0:1], v[0:1], v[6:7]
	v_mov_b32_e32 v77, v89
	v_mov_b32_e32 v58, v60
	;; [unrolled: 1-line block ×10, first 2 shown]
	ds_write_b64 v117, v[76:77] offset:1632
	ds_write2_b64 v116, v[30:31], v[58:59] offset1:34
	ds_write2_b64 v116, v[4:5], v[6:7] offset0:68 offset1:102
	ds_write2_b64 v116, v[0:1], v[2:3] offset0:136 offset1:170
	ds_write_b64 v116, v[28:29] offset:1632
	s_waitcnt lgkmcnt(0)
	s_barrier
	ds_read2_b64 v[0:3], v9 offset0:74 offset1:193
	ds_read2_b64 v[4:7], v53 offset0:110 offset1:229
	;; [unrolled: 1-line block ×6, first 2 shown]
	s_waitcnt lgkmcnt(5)
	v_pk_mul_f32 v[58:59], v[48:49], v[0:1] op_sel:[0,1] op_sel_hi:[1,0]
	v_mov_b32_e32 v56, v49
	v_mov_b32_e32 v58, v59
	v_pk_mul_f32 v[54:55], v[48:49], v[0:1]
	v_pk_mul_f32 v[56:57], v[56:57], v[0:1] op_sel:[0,1] op_sel_hi:[1,0]
	v_pk_fma_f32 v[48:49], v[48:49], v[0:1], v[58:59] op_sel:[0,1,0] op_sel_hi:[1,0,1] neg_lo:[0,0,1] neg_hi:[0,0,1]
	v_mov_b32_e32 v0, v51
	s_waitcnt lgkmcnt(0)
	v_pk_mul_f32 v[60:61], v[0:1], v[32:33] op_sel:[0,1] op_sel_hi:[1,0]
	v_pk_mul_f32 v[0:1], v[50:51], v[32:33] op_sel:[0,1] op_sel_hi:[1,0]
	v_pk_mul_f32 v[58:59], v[50:51], v[32:33]
	v_mov_b32_e32 v0, v1
	v_pk_fma_f32 v[32:33], v[50:51], v[32:33], v[0:1] op_sel:[0,1,0] op_sel_hi:[1,0,1] neg_lo:[0,0,1] neg_hi:[0,0,1]
	v_mov_b32_e32 v0, v45
	v_pk_mul_f32 v[62:63], v[0:1], v[2:3] op_sel:[0,1] op_sel_hi:[1,0]
	v_pk_mul_f32 v[0:1], v[44:45], v[2:3] op_sel:[0,1] op_sel_hi:[1,0]
	v_pk_mul_f32 v[50:51], v[44:45], v[2:3]
	v_mov_b32_e32 v0, v1
	v_pk_fma_f32 v[44:45], v[44:45], v[2:3], v[0:1] op_sel:[0,1,0] op_sel_hi:[1,0,1] neg_lo:[0,0,1] neg_hi:[0,0,1]
	v_mov_b32_e32 v0, v47
	v_pk_mul_f32 v[66:67], v[0:1], v[34:35] op_sel:[0,1] op_sel_hi:[1,0]
	v_pk_mul_f32 v[0:1], v[46:47], v[34:35] op_sel:[0,1] op_sel_hi:[1,0]
	v_pk_mul_f32 v[68:69], v[40:41], v[4:5] op_sel_hi:[1,0]
	v_mov_b32_e32 v0, v1
	v_pk_mul_f32 v[64:65], v[46:47], v[34:35]
	v_pk_fma_f32 v[34:35], v[46:47], v[34:35], v[0:1] op_sel:[0,1,0] op_sel_hi:[1,0,1] neg_lo:[0,0,1] neg_hi:[0,0,1]
	v_mov_b32_e32 v46, v5
	v_pk_fma_f32 v[4:5], v[40:41], v[4:5], v[68:69] op_sel:[0,1,1] op_sel_hi:[1,1,0]
	v_pk_fma_f32 v[46:47], v[40:41], v[46:47], v[68:69] op_sel:[0,0,1] op_sel_hi:[1,1,0] neg_lo:[0,0,1] neg_hi:[0,0,1]
	v_mov_b32_e32 v4, v21
	v_pk_mul_f32 v[40:41], v[42:43], v[20:21] op_sel_hi:[1,0]
	v_mov_b32_e32 v47, v5
	v_pk_fma_f32 v[4:5], v[42:43], v[4:5], v[40:41] op_sel:[0,0,1] op_sel_hi:[1,1,0] neg_lo:[0,0,1] neg_hi:[0,0,1]
	v_pk_fma_f32 v[20:21], v[42:43], v[20:21], v[40:41] op_sel:[0,1,1] op_sel_hi:[1,1,0]
	v_pk_mul_f32 v[40:41], v[36:37], v[24:25] op_sel_hi:[1,0]
	v_mov_b32_e32 v20, v25
	v_pk_fma_f32 v[24:25], v[36:37], v[24:25], v[40:41] op_sel:[0,1,1] op_sel_hi:[1,1,0]
	v_mov_b32_e32 v5, v21
	v_pk_fma_f32 v[20:21], v[36:37], v[20:21], v[40:41] op_sel:[0,0,1] op_sel_hi:[1,1,0] neg_lo:[0,0,1] neg_hi:[0,0,1]
	v_mov_b32_e32 v24, v29
	v_pk_mul_f32 v[36:37], v[38:39], v[28:29] op_sel_hi:[1,0]
	v_mov_b32_e32 v21, v25
	v_pk_fma_f32 v[24:25], v[38:39], v[24:25], v[36:37] op_sel:[0,0,1] op_sel_hi:[1,1,0] neg_lo:[0,0,1] neg_hi:[0,0,1]
	v_pk_fma_f32 v[28:29], v[38:39], v[28:29], v[36:37] op_sel:[0,1,1] op_sel_hi:[1,1,0]
	v_mov_b32_e32 v59, v46
	v_mov_b32_e32 v25, v29
	;; [unrolled: 1-line block ×5, first 2 shown]
	v_pk_add_f32 v[28:29], v[46:47], v[24:25]
	v_pk_add_f32 v[36:37], v[46:47], v[24:25] neg_lo:[0,1] neg_hi:[0,1]
	v_pk_add_f32 v[38:39], v[4:5], v[20:21]
	v_pk_add_f32 v[40:41], v[4:5], v[20:21] neg_lo:[0,1] neg_hi:[0,1]
	v_pk_add_f32 v[24:25], v[58:59], v[60:61]
	v_pk_add_f32 v[4:5], v[54:55], v[56:57]
	v_mov_b32_e32 v33, v24
	v_mov_b32_e32 v49, v4
	ds_read2_b64 v[0:3], v83 offset1:119
	v_pk_add_f32 v[20:21], v[32:33], v[48:49] neg_lo:[0,1] neg_hi:[0,1]
	v_mov_b32_e32 v56, v39
	v_mov_b32_e32 v57, v48
	v_mov_b32_e32 v48, v29
	v_mov_b32_e32 v49, v32
	v_mov_b32_e32 v42, v20
	v_mov_b32_e32 v43, v37
	v_mov_b32_e32 v46, v40
	v_mov_b32_e32 v47, v21
	v_pk_add_f32 v[32:33], v[56:57], v[48:49]
	v_pk_add_f32 v[48:49], v[4:5], v[24:25]
	v_pk_add_f32 v[42:43], v[42:43], v[46:47] neg_lo:[0,1] neg_hi:[0,1]
	v_mov_b32_e32 v46, v36
	v_mov_b32_e32 v54, v20
	;; [unrolled: 1-line block ×8, first 2 shown]
	v_pk_add_f32 v[46:47], v[46:47], v[54:55] neg_lo:[0,1] neg_hi:[0,1]
	v_pk_add_f32 v[56:57], v[24:25], v[56:57] neg_lo:[0,1] neg_hi:[0,1]
	;; [unrolled: 1-line block ×3, first 2 shown]
	v_pk_mul_f32 v[42:43], v[42:43], s[16:17]
	v_pk_mul_f32 v[54:55], v[46:47], s[10:11]
	v_pk_add_f32 v[20:21], v[20:21], v[40:41]
	v_pk_add_f32 v[32:33], v[32:33], v[48:49]
	v_pk_mul_f32 v[48:49], v[56:57], s[22:23]
	v_pk_mul_f32 v[56:57], v[58:59], s[24:25]
	v_mov_b32_e32 v4, v39
	v_mov_b32_e32 v24, v29
	v_pk_add_f32 v[20:21], v[20:21], v[36:37]
	s_waitcnt lgkmcnt(0)
	v_pk_add_f32 v[0:1], v[0:1], v[32:33]
	v_pk_add_f32 v[36:37], v[40:41], v[36:37] neg_lo:[0,1] neg_hi:[0,1]
	v_pk_add_f32 v[4:5], v[4:5], v[24:25] neg_lo:[0,1] neg_hi:[0,1]
	v_mov_b32_e32 v24, v56
	v_mov_b32_e32 v25, v49
	;; [unrolled: 1-line block ×4, first 2 shown]
	v_pk_fma_f32 v[32:33], v[32:33], s[20:21], v[0:1] op_sel_hi:[1,0,1] neg_lo:[1,0,0] neg_hi:[1,0,0]
	v_pk_fma_f32 v[24:25], v[4:5], s[18:19], v[24:25] op_sel_hi:[1,0,1] neg_lo:[1,0,1] neg_hi:[1,0,1]
	;; [unrolled: 1-line block ×3, first 2 shown]
	v_pk_add_f32 v[24:25], v[24:25], v[32:33]
	v_pk_fma_f32 v[28:29], v[20:21], s[0:1], v[28:29] op_sel_hi:[1,0,1]
	v_pk_fma_f32 v[58:59], v[58:59], s[24:25], v[48:49]
	v_pk_fma_f32 v[46:47], v[46:47], s[10:11], v[42:43]
	v_pk_add_f32 v[38:39], v[24:25], v[28:29]
	v_pk_add_f32 v[24:25], v[24:25], v[28:29] neg_lo:[0,1] neg_hi:[0,1]
	v_mov_b32_e32 v49, v57
	v_mov_b32_e32 v43, v55
	;; [unrolled: 1-line block ×5, first 2 shown]
	v_pk_fma_f32 v[4:5], v[4:5], s[18:19], v[48:49] op_sel_hi:[1,0,1] neg_lo:[0,0,1] neg_hi:[0,0,1]
	v_pk_fma_f32 v[24:25], v[36:37], s[14:15], v[42:43] op_sel_hi:[1,0,1] neg_lo:[0,0,1] neg_hi:[0,0,1]
	v_pk_fma_f32 v[46:47], v[20:21], s[0:1], v[46:47] op_sel_hi:[1,0,1]
	v_pk_add_f32 v[4:5], v[4:5], v[32:33]
	v_pk_fma_f32 v[20:21], v[20:21], s[0:1], v[24:25] op_sel_hi:[1,0,1]
	v_pk_add_f32 v[58:59], v[58:59], v[32:33]
	v_pk_add_f32 v[24:25], v[4:5], v[20:21] neg_lo:[0,1] neg_hi:[0,1]
	v_pk_mul_f32 v[32:33], v[16:17], v[6:7] op_sel_hi:[1,0]
	v_pk_add_f32 v[4:5], v[4:5], v[20:21]
	v_mov_b32_e32 v20, v24
	v_mov_b32_e32 v24, v7
	v_pk_fma_f32 v[6:7], v[16:17], v[6:7], v[32:33] op_sel:[0,1,1] op_sel_hi:[1,1,0]
	v_mov_b32_e32 v21, v5
	v_mov_b32_e32 v5, v25
	v_pk_fma_f32 v[24:25], v[16:17], v[24:25], v[32:33] op_sel:[0,0,1] op_sel_hi:[1,1,0] neg_lo:[0,0,1] neg_hi:[0,0,1]
	v_mov_b32_e32 v6, v23
	v_pk_mul_f32 v[16:17], v[18:19], v[22:23] op_sel_hi:[1,0]
	v_mov_b32_e32 v25, v7
	v_pk_fma_f32 v[6:7], v[18:19], v[6:7], v[16:17] op_sel:[0,0,1] op_sel_hi:[1,1,0] neg_lo:[0,0,1] neg_hi:[0,0,1]
	v_pk_fma_f32 v[16:17], v[18:19], v[22:23], v[16:17] op_sel:[0,1,1] op_sel_hi:[1,1,0]
	v_pk_mul_f32 v[18:19], v[12:13], v[26:27] op_sel_hi:[1,0]
	v_mov_b32_e32 v16, v27
	v_mov_b32_e32 v7, v17
	v_pk_fma_f32 v[16:17], v[12:13], v[16:17], v[18:19] op_sel:[0,0,1] op_sel_hi:[1,1,0] neg_lo:[0,0,1] neg_hi:[0,0,1]
	v_pk_fma_f32 v[12:13], v[12:13], v[26:27], v[18:19] op_sel:[0,1,1] op_sel_hi:[1,1,0]
	v_pk_mul_f32 v[18:19], v[14:15], v[30:31] op_sel_hi:[1,0]
	v_mov_b32_e32 v12, v31
	v_mov_b32_e32 v17, v13
	v_pk_fma_f32 v[12:13], v[14:15], v[12:13], v[18:19] op_sel:[0,0,1] op_sel_hi:[1,1,0] neg_lo:[0,0,1] neg_hi:[0,0,1]
	v_pk_fma_f32 v[14:15], v[14:15], v[30:31], v[18:19] op_sel:[0,1,1] op_sel_hi:[1,1,0]
	v_mov_b32_e32 v65, v24
	v_mov_b32_e32 v13, v15
	;; [unrolled: 1-line block ×5, first 2 shown]
	v_pk_add_f32 v[14:15], v[24:25], v[12:13]
	v_pk_add_f32 v[18:19], v[24:25], v[12:13] neg_lo:[0,1] neg_hi:[0,1]
	v_pk_add_f32 v[22:23], v[6:7], v[16:17]
	v_pk_add_f32 v[26:27], v[6:7], v[16:17] neg_lo:[0,1] neg_hi:[0,1]
	v_pk_add_f32 v[12:13], v[64:65], v[66:67]
	v_pk_add_f32 v[6:7], v[50:51], v[62:63]
	v_mov_b32_e32 v35, v12
	v_mov_b32_e32 v45, v6
	;; [unrolled: 1-line block ×6, first 2 shown]
	v_pk_add_f32 v[16:17], v[34:35], v[44:45] neg_lo:[0,1] neg_hi:[0,1]
	v_pk_add_f32 v[34:35], v[36:37], v[40:41]
	v_pk_add_f32 v[36:37], v[6:7], v[12:13]
	v_mov_b32_e32 v24, v16
	v_mov_b32_e32 v25, v19
	;; [unrolled: 1-line block ×7, first 2 shown]
	v_pk_add_f32 v[24:25], v[24:25], v[30:31] neg_lo:[0,1] neg_hi:[0,1]
	v_mov_b32_e32 v30, v18
	v_mov_b32_e32 v32, v16
	;; [unrolled: 1-line block ×3, first 2 shown]
	v_pk_add_f32 v[40:41], v[12:13], v[40:41] neg_lo:[0,1] neg_hi:[0,1]
	v_mov_b32_e32 v42, v15
	v_mov_b32_e32 v43, v35
	;; [unrolled: 1-line block ×3, first 2 shown]
	v_pk_add_f32 v[34:35], v[34:35], v[36:37]
	v_pk_mul_f32 v[24:25], v[24:25], s[16:17]
	v_pk_add_f32 v[30:31], v[30:31], v[32:33] neg_lo:[0,1] neg_hi:[0,1]
	v_pk_add_f32 v[16:17], v[16:17], v[26:27]
	v_pk_add_f32 v[42:43], v[42:43], v[6:7] neg_lo:[0,1] neg_hi:[0,1]
	v_pk_add_f32 v[2:3], v[2:3], v[34:35]
	v_pk_mul_f32 v[36:37], v[40:41], s[22:23]
	v_pk_mul_f32 v[32:33], v[30:31], s[10:11]
	v_pk_add_f32 v[16:17], v[16:17], v[18:19]
	v_pk_mul_f32 v[40:41], v[42:43], s[24:25]
	v_pk_fma_f32 v[34:35], v[34:35], s[20:21], v[2:3] op_sel_hi:[1,0,1] neg_lo:[1,0,0] neg_hi:[1,0,0]
	v_pk_fma_f32 v[42:43], v[42:43], s[24:25], v[36:37]
	v_pk_fma_f32 v[30:31], v[30:31], s[10:11], v[24:25]
	v_pk_add_f32 v[42:43], v[42:43], v[34:35]
	v_pk_fma_f32 v[30:31], v[16:17], s[0:1], v[30:31] op_sel_hi:[1,0,1]
	v_pk_add_f32 v[60:61], v[58:59], v[46:47]
	v_pk_add_f32 v[46:47], v[58:59], v[46:47] neg_lo:[0,1] neg_hi:[0,1]
	v_pk_add_f32 v[44:45], v[42:43], v[30:31]
	v_pk_add_f32 v[30:31], v[42:43], v[30:31] neg_lo:[0,1] neg_hi:[0,1]
	v_mov_b32_e32 v59, v61
	v_mov_b32_e32 v61, v47
	ds_write2_b64 v83, v[0:1], v[2:3] offset1:119
	v_mov_b32_e32 v0, v44
	v_mov_b32_e32 v1, v31
	;; [unrolled: 1-line block ×4, first 2 shown]
	ds_write2_b64 v53, v[60:61], v[0:1] offset0:110 offset1:229
	v_pk_add_f32 v[0:1], v[26:27], v[18:19] neg_lo:[0,1] neg_hi:[0,1]
	v_pk_add_f32 v[2:3], v[6:7], v[12:13] neg_lo:[0,1] neg_hi:[0,1]
	v_mov_b32_e32 v6, v40
	v_mov_b32_e32 v7, v37
	;; [unrolled: 1-line block ×4, first 2 shown]
	v_pk_fma_f32 v[6:7], v[2:3], s[18:19], v[6:7] op_sel_hi:[1,0,1] neg_lo:[1,0,1] neg_hi:[1,0,1]
	v_pk_fma_f32 v[12:13], v[0:1], s[14:15], v[12:13] op_sel_hi:[1,0,1] neg_lo:[1,0,1] neg_hi:[1,0,1]
	v_pk_add_f32 v[6:7], v[6:7], v[34:35]
	v_pk_fma_f32 v[12:13], v[16:17], s[0:1], v[12:13] op_sel_hi:[1,0,1]
	v_mov_b32_e32 v37, v41
	v_mov_b32_e32 v25, v33
	v_pk_add_f32 v[14:15], v[6:7], v[12:13]
	v_pk_add_f32 v[6:7], v[6:7], v[12:13] neg_lo:[0,1] neg_hi:[0,1]
	v_pk_fma_f32 v[2:3], v[2:3], s[18:19], v[36:37] op_sel_hi:[1,0,1] neg_lo:[0,0,1] neg_hi:[0,0,1]
	v_pk_fma_f32 v[0:1], v[0:1], s[14:15], v[24:25] op_sel_hi:[1,0,1] neg_lo:[0,0,1] neg_hi:[0,0,1]
	v_mov_b32_e32 v12, v14
	v_mov_b32_e32 v13, v7
	v_pk_add_f32 v[2:3], v[2:3], v[34:35]
	v_pk_fma_f32 v[0:1], v[16:17], s[0:1], v[0:1] op_sel_hi:[1,0,1]
	ds_write2_b64 v11, v[38:39], v[12:13] offset0:92 offset1:211
	v_pk_add_f32 v[12:13], v[2:3], v[0:1] neg_lo:[0,1] neg_hi:[0,1]
	v_pk_add_f32 v[0:1], v[2:3], v[0:1]
	v_mov_b32_e32 v58, v46
	v_mov_b32_e32 v2, v12
	v_mov_b32_e32 v3, v1
	v_mov_b32_e32 v1, v13
	v_mov_b32_e32 v7, v15
	v_mov_b32_e32 v31, v45
	ds_write2_b64 v9, v[20:21], v[2:3] offset0:74 offset1:193
	ds_write2_b64 v52, v[4:5], v[0:1] offset0:56 offset1:175
	ds_write2_b64 v10, v[28:29], v[6:7] offset0:38 offset1:157
	ds_write2_b64 v8, v[58:59], v[30:31] offset0:20 offset1:139
	s_waitcnt lgkmcnt(0)
	s_barrier
	s_and_b64 exec, exec, s[2:3]
	s_cbranch_execz .LBB0_15
; %bb.14:
	global_load_dwordx2 v[0:1], v80, s[8:9]
	v_mad_u64_u32 v[4:5], s[0:1], s6, v100, 0
	ds_read_b64 v[6:7], v83
	v_mad_u64_u32 v[8:9], s[2:3], s4, v82, 0
	v_mov_b32_e32 v10, v5
	v_mov_b32_e32 v12, v9
	v_mad_u64_u32 v[10:11], s[2:3], s7, v100, v[10:11]
	v_mov_b32_e32 v2, s12
	v_mov_b32_e32 v3, s13
	;; [unrolled: 3-line block ×3, first 2 shown]
	v_lshl_add_u64 v[2:3], v[4:5], 3, v[2:3]
	v_lshl_add_u64 v[4:5], v[8:9], 3, v[2:3]
	s_mov_b32 s0, 0xca869b81
	s_mov_b32 s1, 0x3f43ab2d
	v_mov_b32_e32 v12, 0x310
	s_mul_i32 s2, s5, 0x310
	v_mov_b32_e32 v81, 0
	s_movk_i32 s3, 0x1000
	s_waitcnt vmcnt(0) lgkmcnt(0)
	v_mul_f32_e32 v2, v7, v1
	v_mul_f32_e32 v1, v6, v1
	v_fmac_f32_e32 v2, v6, v0
	v_fma_f32 v3, v0, v7, -v1
	v_cvt_f64_f32_e32 v[0:1], v2
	v_cvt_f64_f32_e32 v[2:3], v3
	v_mul_f64 v[0:1], v[0:1], s[0:1]
	v_mul_f64 v[2:3], v[2:3], s[0:1]
	v_cvt_f32_f64_e32 v0, v[0:1]
	v_cvt_f32_f64_e32 v1, v[2:3]
	global_store_dwordx2 v[4:5], v[0:1], off
	global_load_dwordx2 v[6:7], v80, s[8:9] offset:784
	ds_read2_b64 v[0:3], v101 offset0:98 offset1:196
	v_mad_u64_u32 v[4:5], s[6:7], s4, v12, v[4:5]
	v_add_u32_e32 v5, s2, v5
	s_waitcnt vmcnt(0) lgkmcnt(0)
	v_mul_f32_e32 v8, v1, v7
	v_mul_f32_e32 v7, v0, v7
	v_fmac_f32_e32 v8, v0, v6
	v_fma_f32 v6, v6, v1, -v7
	v_cvt_f64_f32_e32 v[0:1], v8
	v_cvt_f64_f32_e32 v[6:7], v6
	v_mul_f64 v[0:1], v[0:1], s[0:1]
	v_mul_f64 v[6:7], v[6:7], s[0:1]
	v_cvt_f32_f64_e32 v0, v[0:1]
	v_cvt_f32_f64_e32 v1, v[6:7]
	global_store_dwordx2 v[4:5], v[0:1], off
	global_load_dwordx2 v[0:1], v80, s[8:9] offset:1568
	v_mad_u64_u32 v[4:5], s[6:7], s4, v12, v[4:5]
	v_add_u32_e32 v5, s2, v5
	s_waitcnt vmcnt(0)
	v_mul_f32_e32 v6, v3, v1
	v_mul_f32_e32 v1, v2, v1
	v_fmac_f32_e32 v6, v2, v0
	v_fma_f32 v2, v0, v3, -v1
	v_cvt_f64_f32_e32 v[0:1], v6
	v_cvt_f64_f32_e32 v[2:3], v2
	v_mul_f64 v[0:1], v[0:1], s[0:1]
	v_mul_f64 v[2:3], v[2:3], s[0:1]
	v_cvt_f32_f64_e32 v0, v[0:1]
	v_cvt_f32_f64_e32 v1, v[2:3]
	global_store_dwordx2 v[4:5], v[0:1], off
	global_load_dwordx2 v[6:7], v80, s[8:9] offset:2352
	v_add_u32_e32 v0, 0x800, v101
	ds_read2_b64 v[0:3], v0 offset0:38 offset1:136
	v_mad_u64_u32 v[4:5], s[6:7], s4, v12, v[4:5]
	v_add_u32_e32 v5, s2, v5
	s_waitcnt vmcnt(0) lgkmcnt(0)
	v_mul_f32_e32 v8, v1, v7
	v_mul_f32_e32 v7, v0, v7
	v_fmac_f32_e32 v8, v0, v6
	v_fma_f32 v6, v6, v1, -v7
	v_cvt_f64_f32_e32 v[0:1], v8
	v_cvt_f64_f32_e32 v[6:7], v6
	v_mul_f64 v[0:1], v[0:1], s[0:1]
	v_mul_f64 v[6:7], v[6:7], s[0:1]
	v_cvt_f32_f64_e32 v0, v[0:1]
	v_cvt_f32_f64_e32 v1, v[6:7]
	global_store_dwordx2 v[4:5], v[0:1], off
	global_load_dwordx2 v[0:1], v80, s[8:9] offset:3136
	v_mad_u64_u32 v[6:7], s[6:7], s4, v12, v[4:5]
	v_add_u32_e32 v7, s2, v7
	s_waitcnt vmcnt(0)
	v_mul_f32_e32 v4, v3, v1
	v_mul_f32_e32 v1, v2, v1
	v_fmac_f32_e32 v4, v2, v0
	v_fma_f32 v2, v0, v3, -v1
	v_cvt_f64_f32_e32 v[0:1], v4
	v_cvt_f64_f32_e32 v[2:3], v2
	v_mul_f64 v[0:1], v[0:1], s[0:1]
	v_mul_f64 v[2:3], v[2:3], s[0:1]
	v_cvt_f32_f64_e32 v0, v[0:1]
	v_cvt_f32_f64_e32 v1, v[2:3]
	global_store_dwordx2 v[6:7], v[0:1], off
	global_load_dwordx2 v[8:9], v80, s[8:9] offset:3920
	v_add_u32_e32 v2, 0xc00, v101
	ds_read2_b64 v[2:5], v2 offset0:106 offset1:204
	v_lshl_add_u64 v[0:1], s[8:9], 0, v[80:81]
	v_mad_u64_u32 v[6:7], s[6:7], s4, v12, v[6:7]
	v_add_co_u32_e32 v10, vcc, s3, v0
	v_add_u32_e32 v7, s2, v7
	s_nop 0
	v_addc_co_u32_e32 v11, vcc, 0, v1, vcc
	s_movk_i32 s3, 0x2000
	s_waitcnt vmcnt(0) lgkmcnt(0)
	v_mul_f32_e32 v13, v3, v9
	v_mul_f32_e32 v9, v2, v9
	v_fmac_f32_e32 v13, v2, v8
	v_fma_f32 v8, v8, v3, -v9
	v_cvt_f64_f32_e32 v[2:3], v13
	v_cvt_f64_f32_e32 v[8:9], v8
	v_mul_f64 v[2:3], v[2:3], s[0:1]
	v_mul_f64 v[8:9], v[8:9], s[0:1]
	v_cvt_f32_f64_e32 v2, v[2:3]
	v_cvt_f32_f64_e32 v3, v[8:9]
	global_store_dwordx2 v[6:7], v[2:3], off
	global_load_dwordx2 v[2:3], v[10:11], off offset:608
	v_mad_u64_u32 v[6:7], s[6:7], s4, v12, v[6:7]
	v_add_u32_e32 v7, s2, v7
	s_waitcnt vmcnt(0)
	v_mul_f32_e32 v8, v5, v3
	v_mul_f32_e32 v3, v4, v3
	v_fmac_f32_e32 v8, v4, v2
	v_fma_f32 v4, v2, v5, -v3
	v_cvt_f64_f32_e32 v[2:3], v8
	v_cvt_f64_f32_e32 v[4:5], v4
	v_mul_f64 v[2:3], v[2:3], s[0:1]
	v_mul_f64 v[4:5], v[4:5], s[0:1]
	v_cvt_f32_f64_e32 v2, v[2:3]
	v_cvt_f32_f64_e32 v3, v[4:5]
	global_store_dwordx2 v[6:7], v[2:3], off
	global_load_dwordx2 v[8:9], v[10:11], off offset:1392
	v_add_u32_e32 v2, 0x1400, v101
	ds_read2_b64 v[2:5], v2 offset0:46 offset1:144
	v_mad_u64_u32 v[6:7], s[6:7], s4, v12, v[6:7]
	v_add_u32_e32 v7, s2, v7
	s_waitcnt vmcnt(0) lgkmcnt(0)
	v_mul_f32_e32 v13, v3, v9
	v_mul_f32_e32 v9, v2, v9
	v_fmac_f32_e32 v13, v2, v8
	v_fma_f32 v8, v8, v3, -v9
	v_cvt_f64_f32_e32 v[2:3], v13
	v_cvt_f64_f32_e32 v[8:9], v8
	v_mul_f64 v[2:3], v[2:3], s[0:1]
	v_mul_f64 v[8:9], v[8:9], s[0:1]
	v_cvt_f32_f64_e32 v2, v[2:3]
	v_cvt_f32_f64_e32 v3, v[8:9]
	global_store_dwordx2 v[6:7], v[2:3], off
	global_load_dwordx2 v[2:3], v[10:11], off offset:2176
	v_mad_u64_u32 v[6:7], s[6:7], s4, v12, v[6:7]
	v_add_u32_e32 v7, s2, v7
	s_waitcnt vmcnt(0)
	v_mul_f32_e32 v8, v5, v3
	v_mul_f32_e32 v3, v4, v3
	v_fmac_f32_e32 v8, v4, v2
	v_fma_f32 v4, v2, v5, -v3
	v_cvt_f64_f32_e32 v[2:3], v8
	v_cvt_f64_f32_e32 v[4:5], v4
	v_mul_f64 v[2:3], v[2:3], s[0:1]
	v_mul_f64 v[4:5], v[4:5], s[0:1]
	v_cvt_f32_f64_e32 v2, v[2:3]
	v_cvt_f32_f64_e32 v3, v[4:5]
	global_store_dwordx2 v[6:7], v[2:3], off
	global_load_dwordx2 v[8:9], v[10:11], off offset:2960
	v_add_u32_e32 v2, 0x1800, v101
	ds_read2_b64 v[2:5], v2 offset0:114 offset1:212
	v_mad_u64_u32 v[6:7], s[6:7], s4, v12, v[6:7]
	v_add_u32_e32 v7, s2, v7
	s_waitcnt vmcnt(0) lgkmcnt(0)
	v_mul_f32_e32 v13, v3, v9
	v_mul_f32_e32 v9, v2, v9
	v_fmac_f32_e32 v13, v2, v8
	v_fma_f32 v8, v8, v3, -v9
	v_cvt_f64_f32_e32 v[2:3], v13
	v_cvt_f64_f32_e32 v[8:9], v8
	v_mul_f64 v[2:3], v[2:3], s[0:1]
	v_mul_f64 v[8:9], v[8:9], s[0:1]
	v_cvt_f32_f64_e32 v2, v[2:3]
	v_cvt_f32_f64_e32 v3, v[8:9]
	global_store_dwordx2 v[6:7], v[2:3], off
	global_load_dwordx2 v[2:3], v[10:11], off offset:3744
	v_mad_u64_u32 v[6:7], s[6:7], s4, v12, v[6:7]
	v_add_co_u32_e32 v8, vcc, s3, v0
	v_add_u32_e32 v7, s2, v7
	s_nop 0
	v_addc_co_u32_e32 v9, vcc, 0, v1, vcc
	s_movk_i32 s3, 0x3000
	v_add_co_u32_e32 v0, vcc, s3, v0
	s_waitcnt vmcnt(0)
	v_mul_f32_e32 v10, v5, v3
	v_mul_f32_e32 v3, v4, v3
	v_fmac_f32_e32 v10, v4, v2
	v_fma_f32 v4, v2, v5, -v3
	v_cvt_f64_f32_e32 v[2:3], v10
	v_cvt_f64_f32_e32 v[4:5], v4
	v_mul_f64 v[2:3], v[2:3], s[0:1]
	v_mul_f64 v[4:5], v[4:5], s[0:1]
	v_cvt_f32_f64_e32 v2, v[2:3]
	v_cvt_f32_f64_e32 v3, v[4:5]
	global_store_dwordx2 v[6:7], v[2:3], off
	global_load_dwordx2 v[10:11], v[8:9], off offset:432
	v_add_u32_e32 v2, 0x2000, v101
	ds_read2_b64 v[2:5], v2 offset0:54 offset1:152
	v_mad_u64_u32 v[6:7], s[6:7], s4, v12, v[6:7]
	v_add_u32_e32 v7, s2, v7
	v_addc_co_u32_e32 v1, vcc, 0, v1, vcc
	s_waitcnt vmcnt(0) lgkmcnt(0)
	v_mul_f32_e32 v13, v3, v11
	v_mul_f32_e32 v11, v2, v11
	v_fmac_f32_e32 v13, v2, v10
	v_fma_f32 v10, v10, v3, -v11
	v_cvt_f64_f32_e32 v[2:3], v13
	v_cvt_f64_f32_e32 v[10:11], v10
	v_mul_f64 v[2:3], v[2:3], s[0:1]
	v_mul_f64 v[10:11], v[10:11], s[0:1]
	v_cvt_f32_f64_e32 v2, v[2:3]
	v_cvt_f32_f64_e32 v3, v[10:11]
	global_store_dwordx2 v[6:7], v[2:3], off
	global_load_dwordx2 v[2:3], v[8:9], off offset:1216
	v_mad_u64_u32 v[6:7], s[6:7], s4, v12, v[6:7]
	v_add_u32_e32 v7, s2, v7
	s_waitcnt vmcnt(0)
	v_mul_f32_e32 v10, v5, v3
	v_mul_f32_e32 v3, v4, v3
	v_fmac_f32_e32 v10, v4, v2
	v_fma_f32 v4, v2, v5, -v3
	v_cvt_f64_f32_e32 v[2:3], v10
	v_cvt_f64_f32_e32 v[4:5], v4
	v_mul_f64 v[2:3], v[2:3], s[0:1]
	v_mul_f64 v[4:5], v[4:5], s[0:1]
	v_cvt_f32_f64_e32 v2, v[2:3]
	v_cvt_f32_f64_e32 v3, v[4:5]
	global_store_dwordx2 v[6:7], v[2:3], off
	global_load_dwordx2 v[10:11], v[8:9], off offset:2000
	v_add_u32_e32 v2, 0x2400, v101
	ds_read2_b64 v[2:5], v2 offset0:122 offset1:220
	v_mad_u64_u32 v[6:7], s[6:7], s4, v12, v[6:7]
	v_add_u32_e32 v7, s2, v7
	s_waitcnt vmcnt(0) lgkmcnt(0)
	v_mul_f32_e32 v13, v3, v11
	v_mul_f32_e32 v11, v2, v11
	v_fmac_f32_e32 v13, v2, v10
	v_fma_f32 v10, v10, v3, -v11
	v_cvt_f64_f32_e32 v[2:3], v13
	v_cvt_f64_f32_e32 v[10:11], v10
	v_mul_f64 v[2:3], v[2:3], s[0:1]
	v_mul_f64 v[10:11], v[10:11], s[0:1]
	v_cvt_f32_f64_e32 v2, v[2:3]
	v_cvt_f32_f64_e32 v3, v[10:11]
	global_store_dwordx2 v[6:7], v[2:3], off
	global_load_dwordx2 v[2:3], v[8:9], off offset:2784
	v_mad_u64_u32 v[6:7], s[6:7], s4, v12, v[6:7]
	v_add_u32_e32 v7, s2, v7
	s_waitcnt vmcnt(0)
	v_mul_f32_e32 v10, v5, v3
	v_mul_f32_e32 v3, v4, v3
	v_fmac_f32_e32 v10, v4, v2
	v_fma_f32 v4, v2, v5, -v3
	v_cvt_f64_f32_e32 v[2:3], v10
	v_cvt_f64_f32_e32 v[4:5], v4
	v_mul_f64 v[2:3], v[2:3], s[0:1]
	v_mul_f64 v[4:5], v[4:5], s[0:1]
	v_cvt_f32_f64_e32 v2, v[2:3]
	v_cvt_f32_f64_e32 v3, v[4:5]
	global_store_dwordx2 v[6:7], v[2:3], off
	global_load_dwordx2 v[8:9], v[8:9], off offset:3568
	v_add_u32_e32 v2, 0x2c00, v101
	ds_read2_b64 v[2:5], v2 offset0:62 offset1:160
	v_mad_u64_u32 v[6:7], s[6:7], s4, v12, v[6:7]
	v_add_u32_e32 v7, s2, v7
	s_waitcnt vmcnt(0) lgkmcnt(0)
	v_mul_f32_e32 v10, v3, v9
	v_mul_f32_e32 v9, v2, v9
	v_fmac_f32_e32 v10, v2, v8
	v_fma_f32 v8, v8, v3, -v9
	v_cvt_f64_f32_e32 v[2:3], v10
	v_cvt_f64_f32_e32 v[8:9], v8
	v_mul_f64 v[2:3], v[2:3], s[0:1]
	v_mul_f64 v[8:9], v[8:9], s[0:1]
	v_cvt_f32_f64_e32 v2, v[2:3]
	v_cvt_f32_f64_e32 v3, v[8:9]
	global_store_dwordx2 v[6:7], v[2:3], off
	global_load_dwordx2 v[0:1], v[0:1], off offset:256
	v_mad_u64_u32 v[2:3], s[4:5], s4, v12, v[6:7]
	v_add_u32_e32 v3, s2, v3
	s_waitcnt vmcnt(0)
	v_mul_f32_e32 v6, v5, v1
	v_mul_f32_e32 v1, v4, v1
	v_fmac_f32_e32 v6, v4, v0
	v_fma_f32 v4, v0, v5, -v1
	v_cvt_f64_f32_e32 v[0:1], v6
	v_cvt_f64_f32_e32 v[4:5], v4
	v_mul_f64 v[0:1], v[0:1], s[0:1]
	v_mul_f64 v[4:5], v[4:5], s[0:1]
	v_cvt_f32_f64_e32 v0, v[0:1]
	v_cvt_f32_f64_e32 v1, v[4:5]
	global_store_dwordx2 v[2:3], v[0:1], off
.LBB0_15:
	s_endpgm
	.section	.rodata,"a",@progbits
	.p2align	6, 0x0
	.amdhsa_kernel bluestein_single_fwd_len1666_dim1_sp_op_CI_CI
		.amdhsa_group_segment_fixed_size 13328
		.amdhsa_private_segment_fixed_size 0
		.amdhsa_kernarg_size 104
		.amdhsa_user_sgpr_count 2
		.amdhsa_user_sgpr_dispatch_ptr 0
		.amdhsa_user_sgpr_queue_ptr 0
		.amdhsa_user_sgpr_kernarg_segment_ptr 1
		.amdhsa_user_sgpr_dispatch_id 0
		.amdhsa_user_sgpr_kernarg_preload_length 0
		.amdhsa_user_sgpr_kernarg_preload_offset 0
		.amdhsa_user_sgpr_private_segment_size 0
		.amdhsa_uses_dynamic_stack 0
		.amdhsa_enable_private_segment 0
		.amdhsa_system_sgpr_workgroup_id_x 1
		.amdhsa_system_sgpr_workgroup_id_y 0
		.amdhsa_system_sgpr_workgroup_id_z 0
		.amdhsa_system_sgpr_workgroup_info 0
		.amdhsa_system_vgpr_workitem_id 0
		.amdhsa_next_free_vgpr 296
		.amdhsa_next_free_sgpr 58
		.amdhsa_accum_offset 256
		.amdhsa_reserve_vcc 1
		.amdhsa_float_round_mode_32 0
		.amdhsa_float_round_mode_16_64 0
		.amdhsa_float_denorm_mode_32 3
		.amdhsa_float_denorm_mode_16_64 3
		.amdhsa_dx10_clamp 1
		.amdhsa_ieee_mode 1
		.amdhsa_fp16_overflow 0
		.amdhsa_tg_split 0
		.amdhsa_exception_fp_ieee_invalid_op 0
		.amdhsa_exception_fp_denorm_src 0
		.amdhsa_exception_fp_ieee_div_zero 0
		.amdhsa_exception_fp_ieee_overflow 0
		.amdhsa_exception_fp_ieee_underflow 0
		.amdhsa_exception_fp_ieee_inexact 0
		.amdhsa_exception_int_div_zero 0
	.end_amdhsa_kernel
	.text
.Lfunc_end0:
	.size	bluestein_single_fwd_len1666_dim1_sp_op_CI_CI, .Lfunc_end0-bluestein_single_fwd_len1666_dim1_sp_op_CI_CI
                                        ; -- End function
	.section	.AMDGPU.csdata,"",@progbits
; Kernel info:
; codeLenInByte = 20668
; NumSgprs: 64
; NumVgprs: 256
; NumAgprs: 40
; TotalNumVgprs: 296
; ScratchSize: 0
; MemoryBound: 0
; FloatMode: 240
; IeeeMode: 1
; LDSByteSize: 13328 bytes/workgroup (compile time only)
; SGPRBlocks: 7
; VGPRBlocks: 36
; NumSGPRsForWavesPerEU: 64
; NumVGPRsForWavesPerEU: 296
; AccumOffset: 256
; Occupancy: 1
; WaveLimiterHint : 1
; COMPUTE_PGM_RSRC2:SCRATCH_EN: 0
; COMPUTE_PGM_RSRC2:USER_SGPR: 2
; COMPUTE_PGM_RSRC2:TRAP_HANDLER: 0
; COMPUTE_PGM_RSRC2:TGID_X_EN: 1
; COMPUTE_PGM_RSRC2:TGID_Y_EN: 0
; COMPUTE_PGM_RSRC2:TGID_Z_EN: 0
; COMPUTE_PGM_RSRC2:TIDIG_COMP_CNT: 0
; COMPUTE_PGM_RSRC3_GFX90A:ACCUM_OFFSET: 63
; COMPUTE_PGM_RSRC3_GFX90A:TG_SPLIT: 0
	.text
	.p2alignl 6, 3212836864
	.fill 256, 4, 3212836864
	.type	__hip_cuid_78bbe07d548cb721,@object ; @__hip_cuid_78bbe07d548cb721
	.section	.bss,"aw",@nobits
	.globl	__hip_cuid_78bbe07d548cb721
__hip_cuid_78bbe07d548cb721:
	.byte	0                               ; 0x0
	.size	__hip_cuid_78bbe07d548cb721, 1

	.ident	"AMD clang version 19.0.0git (https://github.com/RadeonOpenCompute/llvm-project roc-6.4.0 25133 c7fe45cf4b819c5991fe208aaa96edf142730f1d)"
	.section	".note.GNU-stack","",@progbits
	.addrsig
	.addrsig_sym __hip_cuid_78bbe07d548cb721
	.amdgpu_metadata
---
amdhsa.kernels:
  - .agpr_count:     40
    .args:
      - .actual_access:  read_only
        .address_space:  global
        .offset:         0
        .size:           8
        .value_kind:     global_buffer
      - .actual_access:  read_only
        .address_space:  global
        .offset:         8
        .size:           8
        .value_kind:     global_buffer
      - .actual_access:  read_only
        .address_space:  global
        .offset:         16
        .size:           8
        .value_kind:     global_buffer
      - .actual_access:  read_only
        .address_space:  global
        .offset:         24
        .size:           8
        .value_kind:     global_buffer
      - .actual_access:  read_only
        .address_space:  global
        .offset:         32
        .size:           8
        .value_kind:     global_buffer
      - .offset:         40
        .size:           8
        .value_kind:     by_value
      - .address_space:  global
        .offset:         48
        .size:           8
        .value_kind:     global_buffer
      - .address_space:  global
        .offset:         56
        .size:           8
        .value_kind:     global_buffer
      - .address_space:  global
        .offset:         64
        .size:           8
        .value_kind:     global_buffer
      - .address_space:  global
        .offset:         72
        .size:           8
        .value_kind:     global_buffer
      - .offset:         80
        .size:           4
        .value_kind:     by_value
      - .address_space:  global
        .offset:         88
        .size:           8
        .value_kind:     global_buffer
      - .address_space:  global
        .offset:         96
        .size:           8
        .value_kind:     global_buffer
    .group_segment_fixed_size: 13328
    .kernarg_segment_align: 8
    .kernarg_segment_size: 104
    .language:       OpenCL C
    .language_version:
      - 2
      - 0
    .max_flat_workgroup_size: 119
    .name:           bluestein_single_fwd_len1666_dim1_sp_op_CI_CI
    .private_segment_fixed_size: 0
    .sgpr_count:     64
    .sgpr_spill_count: 0
    .symbol:         bluestein_single_fwd_len1666_dim1_sp_op_CI_CI.kd
    .uniform_work_group_size: 1
    .uses_dynamic_stack: false
    .vgpr_count:     296
    .vgpr_spill_count: 0
    .wavefront_size: 64
amdhsa.target:   amdgcn-amd-amdhsa--gfx950
amdhsa.version:
  - 1
  - 2
...

	.end_amdgpu_metadata
